;; amdgpu-corpus repo=vllm-project/vllm kind=triton arch=gfx950 opt=O3 lang=triton
	.amdgcn_target "amdgcn-amd-amdhsa--gfx950"
	.amdhsa_code_object_version 5
	.text
	.globl	fused_moe_kernel                ; -- Begin function fused_moe_kernel
	.p2align	8
	.type	fused_moe_kernel,@function
fused_moe_kernel:                       ; @fused_moe_kernel
.Lfunc_begin0:
	.cfi_sections .debug_frame
	.cfi_startproc
; %bb.327:
	.file	1 "/root/src/amdgpu-assembly/repos/vllm-project__vllm/triton_aot_kernels" "fused_moe_aot.py"
	.loc	1 27 0 prologue_end             ; fused_moe_aot.py:27:0
	s_load_dwordx2 s[2:3], s[0:1], 0x0
	s_load_dwordx8 s[4:11], s[0:1], 0x8
	s_load_dwordx4 s[12:15], s[0:1], 0x28
	s_waitcnt lgkmcnt(0)
	s_branch .LBB0_0
	.loc	1 0 0 is_stmt 0                 ; :0:0
.Ltmp0:
	.p2align	8
; %bb.328:
.LBB0_0:
	s_load_dword s33, s[0:1], 0x50
	s_load_dword s8, s[0:1], 0x58
.Ltmp1:
	.loc	1 117 22 is_stmt 1              ; fused_moe_aot.py:117:22
	s_abs_i32 s17, s16
	.loc	1 223 20                        ; fused_moe_aot.py:223:20
	v_readfirstlane_b32 s77, v0
.Ltmp2:
	.file	2 "/root/.local/lib/python3.13/site-packages/triton/language" "standard.py"
	.loc	2 43 17                         ; standard.py:43:17 @[ fused_moe_aot.py:115:27 ]
	s_waitcnt lgkmcnt(0)
	s_add_i32 s9, s33, 63
	.loc	2 43 30 is_stmt 0               ; standard.py:43:30 @[ fused_moe_aot.py:115:27 ]
	s_ashr_i32 s14, s9, 31
	s_lshr_b32 s14, s14, 26
	s_add_i32 s9, s9, s14
	s_ashr_i32 s9, s9, 6
.Ltmp3:
	.loc	1 116 38 is_stmt 1              ; fused_moe_aot.py:116:38
	s_lshl_b32 s14, s9, 3
	.loc	1 117 22                        ; fused_moe_aot.py:117:22
	s_abs_i32 s9, s14
	v_cvt_f32_u32_e32 v1, s9
	s_sub_i32 s18, 0, s9
.Ltmp4:
	.loc	2 43 17                         ; standard.py:43:17 @[ fused_moe_aot.py:114:28 ]
	s_add_i32 s8, s8, 63
	.loc	2 43 30 is_stmt 0               ; standard.py:43:30 @[ fused_moe_aot.py:114:28 ]
	s_ashr_i32 s15, s8, 31
.Ltmp5:
	.loc	1 117 22 is_stmt 1              ; fused_moe_aot.py:117:22
	v_rcp_iflag_f32_e32 v1, v1
.Ltmp6:
	.loc	2 43 30                         ; standard.py:43:30 @[ fused_moe_aot.py:114:28 ]
	s_lshr_b32 s15, s15, 26
	s_add_i32 s8, s8, s15
.Ltmp7:
	.loc	1 117 22                        ; fused_moe_aot.py:117:22
	s_xor_b32 s15, s16, s14
	v_mul_f32_e32 v1, 0x4f7ffffe, v1
	v_cvt_u32_f32_e32 v1, v1
.Ltmp8:
	.loc	2 43 30                         ; standard.py:43:30 @[ fused_moe_aot.py:114:28 ]
	s_ashr_i32 s8, s8, 6
.Ltmp9:
	.loc	1 117 22                        ; fused_moe_aot.py:117:22
	s_ashr_i32 s15, s15, 31
	v_readfirstlane_b32 s19, v1
	s_mul_i32 s18, s18, s19
	s_mul_hi_u32 s18, s19, s18
	s_add_i32 s19, s19, s18
	s_mul_hi_u32 s18, s17, s19
	s_mul_i32 s19, s18, s9
	s_sub_i32 s17, s17, s19
	s_add_i32 s19, s18, 1
	s_sub_i32 s20, s17, s9
	s_cmp_ge_u32 s17, s9
	s_cselect_b32 s18, s19, s18
	s_cselect_b32 s17, s20, s17
	s_add_i32 s19, s18, 1
	s_cmp_ge_u32 s17, s9
	s_cselect_b32 s9, s19, s18
	s_xor_b32 s9, s9, s15
	s_sub_i32 s15, s9, s15
	.loc	1 118 29                        ; fused_moe_aot.py:118:29
	s_lshl_b32 s17, s15, 3
	.loc	1 119 35                        ; fused_moe_aot.py:119:35
	s_sub_i32 s8, s8, s17
	.loc	1 119 48 is_stmt 0              ; fused_moe_aot.py:119:48
	s_min_i32 s18, s8, 8
	.loc	1 121 40 is_stmt 1              ; fused_moe_aot.py:121:40
	s_abs_i32 s19, s18
	v_cvt_f32_u32_e32 v1, s19
	s_sub_i32 s20, 0, s19
	.loc	1 120 34                        ; fused_moe_aot.py:120:34
	s_mul_i32 s15, s15, s14
	s_sub_i32 s14, s16, s15
	.loc	1 121 40                        ; fused_moe_aot.py:121:40
	v_rcp_iflag_f32_e32 v1, v1
	s_abs_i32 s16, s14
	s_xor_b32 s15, s14, s18
	s_ashr_i32 s15, s15, 31
	v_mul_f32_e32 v1, 0x4f7ffffe, v1
	v_cvt_u32_f32_e32 v1, v1
	s_load_dwordx2 s[8:9], s[0:1], 0x48
	v_readfirstlane_b32 s21, v1
	s_mul_i32 s20, s20, s21
	s_mul_hi_u32 s20, s21, s20
	s_add_i32 s21, s21, s20
	s_mul_hi_u32 s20, s16, s21
	s_mul_i32 s21, s20, s19
	s_sub_i32 s16, s16, s21
	s_add_i32 s21, s20, 1
	s_sub_i32 s22, s16, s19
	s_cmp_ge_u32 s16, s19
	s_cselect_b32 s20, s21, s20
	s_cselect_b32 s16, s22, s16
	s_add_i32 s21, s20, 1
	s_cmp_ge_u32 s16, s19
	s_cselect_b32 s16, s21, s20
	s_xor_b32 s16, s16, s15
	s_sub_i32 s20, s16, s15
	.loc	1 130 37                        ; fused_moe_aot.py:130:37
	s_waitcnt lgkmcnt(0)
	s_load_dword s9, s[8:9], 0x0
	.loc	1 120 54                        ; fused_moe_aot.py:120:54
	s_mul_i32 s8, s20, s18
	s_sub_i32 s8, s14, s8
	.loc	1 120 27 is_stmt 0              ; fused_moe_aot.py:120:27
	s_add_i32 s14, s8, s17
	.loc	1 131 15 is_stmt 1              ; fused_moe_aot.py:131:15
	s_lshl_b32 s8, s14, 6
	.loc	1 131 31 is_stmt 0              ; fused_moe_aot.py:131:31
	s_waitcnt lgkmcnt(0)
	s_cmp_lt_i32 s8, s9
	s_cbranch_scc0 .LBB0_326
; %bb.1:
	.loc	1 0 31                          ; fused_moe_aot.py:0:31
	s_load_dwordx4 s[16:19], s[0:1], 0x38
	s_load_dword s78, s[0:1], 0x5c
	.loc	1 134 47 is_stmt 1              ; fused_moe_aot.py:134:47
	s_ashr_i32 s9, s8, 31
	.loc	1 129 24                        ; fused_moe_aot.py:129:24
	s_bfe_u32 s62, s77, 0x20006
	.loc	1 135 52                        ; fused_moe_aot.py:135:52
	s_lshl_b64 s[8:9], s[8:9], 2
	s_waitcnt lgkmcnt(0)
	s_add_u32 s8, s16, s8
	s_addc_u32 s9, s17, s9
	s_lshl_b32 s15, s62, 2
	.loc	1 135 29 is_stmt 0              ; fused_moe_aot.py:135:29
	s_load_dword s34, s[8:9], s15 offset:0x0
	s_load_dword s72, s[8:9], s15 offset:0x10
	;; [unrolled: 1-line block ×16, first 2 shown]
	.loc	1 146 30 is_stmt 1              ; fused_moe_aot.py:146:30
	s_waitcnt lgkmcnt(0)
	s_cmp_lt_i32 s34, s78
	s_cselect_b64 s[86:87], -1, 0
	s_cmp_lt_i32 s72, s78
	s_cselect_b64 s[16:17], -1, 0
                                        ; implicit-def: $vgpr163 : SGPR spill to VGPR lane
	s_cmp_lt_i32 s71, s78
	v_writelane_b32 v163, s16, 0
	.loc	1 129 24                        ; fused_moe_aot.py:129:24
	v_and_b32_e32 v16, 63, v0
	.loc	1 129 41 is_stmt 0              ; fused_moe_aot.py:129:41
	v_mov_b32_e32 v55, 0
	.loc	1 146 30 is_stmt 1              ; fused_moe_aot.py:146:30
	v_writelane_b32 v163, s17, 1
	s_cselect_b64 s[16:17], -1, 0
	v_writelane_b32 v163, s16, 2
	s_cmp_lt_i32 s70, s78
	s_nop 0
	v_writelane_b32 v163, s17, 3
	s_cselect_b64 s[16:17], -1, 0
	v_writelane_b32 v163, s16, 4
	s_cmp_lt_i32 s69, s78
	s_nop 0
	;; [unrolled: 5-line block ×13, first 2 shown]
	v_writelane_b32 v163, s17, 27
	s_cselect_b64 s[16:17], -1, 0
	.loc	1 148 43                        ; fused_moe_aot.py:148:43
	s_ashr_i32 s15, s14, 31
	s_lshl_b64 s[14:15], s[14:15], 2
	s_add_u32 s14, s18, s14
	s_addc_u32 s15, s19, s15
	.loc	1 148 26 is_stmt 0              ; fused_moe_aot.py:148:26
	s_load_dword s79, s[14:15], 0x0
	s_load_dwordx2 s[50:51], s[0:1], 0x74
	.loc	1 0 0                           ; fused_moe_aot.py:0
	s_lshl_b32 s20, s20, 6
	.loc	1 148 43                        ; fused_moe_aot.py:148:43
	v_writelane_b32 v163, s16, 28
	.loc	1 149 22 is_stmt 1              ; fused_moe_aot.py:149:22
	s_waitcnt lgkmcnt(0)
	s_cmp_lg_u32 s79, -1
	.loc	1 148 43                        ; fused_moe_aot.py:148:43
	v_writelane_b32 v163, s17, 29
	.loc	1 149 22                        ; fused_moe_aot.py:149:22
	s_cbranch_scc0 .LBB0_36
; %bb.2:
	.loc	1 167 81                        ; fused_moe_aot.py:167:81
	s_abs_i32 s22, s33
	v_cvt_f32_u32_e32 v12, s22
	.loc	1 129 24                        ; fused_moe_aot.py:129:24
	s_and_b32 s56, s77, 0x80
	v_and_b32_e32 v1, 31, v0
	s_lshr_b32 s14, s56, 2
	.loc	1 167 81                        ; fused_moe_aot.py:167:81
	v_rcp_iflag_f32_e32 v12, v12
	.loc	1 129 24                        ; fused_moe_aot.py:129:24
	v_or_b32_e32 v2, s14, v1
	.loc	1 135 52                        ; fused_moe_aot.py:135:52
	v_lshlrev_b32_e32 v2, 2, v2
	.loc	1 135 29 is_stmt 0              ; fused_moe_aot.py:135:29
	global_load_dword v18, v2, s[8:9]
	.loc	1 129 24 is_stmt 1              ; fused_moe_aot.py:129:24
	v_and_b32_e32 v17, 32, v0
	s_lshr_b32 s8, s77, 1
	.loc	1 167 81                        ; fused_moe_aot.py:167:81
	v_mul_f32_e32 v12, 0x4f7ffffe, v12
	.loc	1 129 24                        ; fused_moe_aot.py:129:24
	v_lshrrev_b32_e32 v2, 3, v17
	s_and_b32 s8, s8, 32
	.loc	1 167 81                        ; fused_moe_aot.py:167:81
	v_cvt_u32_f32_e32 v12, v12
	.loc	1 129 24                        ; fused_moe_aot.py:129:24
	v_or_b32_e32 v2, s8, v2
	v_or_b32_e32 v2, s20, v2
	v_writelane_b32 v163, s8, 30
	.loc	1 167 81                        ; fused_moe_aot.py:167:81
	v_sub_u32_e32 v19, 0, v2
	s_sub_i32 s8, 0, s22
	.loc	1 167 38 is_stmt 0              ; fused_moe_aot.py:167:38
	v_or_b32_e32 v3, 1, v2
	v_or_b32_e32 v4, 2, v2
	;; [unrolled: 1-line block ×15, first 2 shown]
	.loc	1 167 81                        ; fused_moe_aot.py:167:81
	v_max_i32_e32 v2, v19, v2
	v_mul_lo_u32 v19, s8, v12
	v_mul_hi_u32 v19, v12, v19
	v_add_u32_e32 v22, v12, v19
	v_mul_hi_u32 v12, v2, v22
	v_mul_lo_u32 v12, v12, s22
	v_sub_u32_e32 v2, v2, v12
	v_subrev_u32_e32 v12, s22, v2
	v_cmp_le_u32_e32 vcc, s22, v2
	s_load_dword s60, s[0:1], 0x54
	s_load_dwordx2 s[30:31], s[0:1], 0x60
	v_cndmask_b32_e32 v19, v2, v12, vcc
	v_sub_u32_e32 v2, 0, v3
	v_max_i32_e32 v2, v2, v3
	v_mul_hi_u32 v3, v2, v22
	v_mul_lo_u32 v3, v3, s22
	v_sub_u32_e32 v2, v2, v3
	v_subrev_u32_e32 v3, s22, v2
	v_cmp_le_u32_e32 vcc, s22, v2
	v_cmp_le_u32_e64 s[8:9], s22, v19
	.loc	1 170 39 is_stmt 1              ; fused_moe_aot.py:170:39
	s_waitcnt lgkmcnt(0)
	s_mul_i32 s14, s34, s30
	.loc	1 167 81                        ; fused_moe_aot.py:167:81
	v_cndmask_b32_e32 v24, v2, v3, vcc
	v_sub_u32_e32 v2, 0, v4
	v_max_i32_e32 v2, v2, v4
	v_mul_hi_u32 v3, v2, v22
	v_mul_lo_u32 v3, v3, s22
	v_sub_u32_e32 v2, v2, v3
	v_subrev_u32_e32 v3, s22, v2
	v_cmp_le_u32_e32 vcc, s22, v2
	v_writelane_b32 v163, s8, 31
	.loc	1 170 39                        ; fused_moe_aot.py:170:39
	s_mul_hi_i32 s15, s34, s30
	.loc	1 167 81                        ; fused_moe_aot.py:167:81
	v_cndmask_b32_e32 v25, v2, v3, vcc
	v_sub_u32_e32 v2, 0, v5
	v_max_i32_e32 v2, v2, v5
	v_mul_hi_u32 v3, v2, v22
	v_mul_lo_u32 v3, v3, s22
	v_sub_u32_e32 v2, v2, v3
	v_subrev_u32_e32 v3, s22, v2
	v_cmp_le_u32_e32 vcc, s22, v2
	v_writelane_b32 v163, s9, 32
	v_cmp_le_u32_e64 s[8:9], s22, v24
	v_cndmask_b32_e32 v26, v2, v3, vcc
	v_sub_u32_e32 v2, 0, v6
	v_max_i32_e32 v2, v2, v6
	v_mul_hi_u32 v3, v2, v22
	v_mul_lo_u32 v3, v3, s22
	v_sub_u32_e32 v2, v2, v3
	v_subrev_u32_e32 v3, s22, v2
	v_cmp_le_u32_e32 vcc, s22, v2
	v_writelane_b32 v163, s8, 33
	s_nop 0
	v_cndmask_b32_e32 v27, v2, v3, vcc
	v_sub_u32_e32 v2, 0, v7
	v_max_i32_e32 v2, v2, v7
	v_mul_hi_u32 v3, v2, v22
	v_mul_lo_u32 v3, v3, s22
	v_sub_u32_e32 v2, v2, v3
	v_subrev_u32_e32 v3, s22, v2
	v_cmp_le_u32_e32 vcc, s22, v2
	v_writelane_b32 v163, s9, 34
	v_cmp_le_u32_e64 s[8:9], s22, v25
	v_cndmask_b32_e32 v28, v2, v3, vcc
	v_sub_u32_e32 v2, 0, v8
	v_max_i32_e32 v2, v2, v8
	v_mul_hi_u32 v3, v2, v22
	v_mul_lo_u32 v3, v3, s22
	v_sub_u32_e32 v2, v2, v3
	v_subrev_u32_e32 v3, s22, v2
	v_cmp_le_u32_e32 vcc, s22, v2
	v_writelane_b32 v163, s8, 35
	s_nop 0
	v_cndmask_b32_e32 v29, v2, v3, vcc
	v_sub_u32_e32 v2, 0, v9
	v_max_i32_e32 v2, v2, v9
	v_mul_hi_u32 v3, v2, v22
	v_mul_lo_u32 v3, v3, s22
	v_sub_u32_e32 v2, v2, v3
	v_subrev_u32_e32 v3, s22, v2
	v_cmp_le_u32_e32 vcc, s22, v2
	v_writelane_b32 v163, s9, 36
	v_cmp_le_u32_e64 s[8:9], s22, v26
	v_cndmask_b32_e32 v30, v2, v3, vcc
	v_sub_u32_e32 v2, 0, v10
	v_max_i32_e32 v2, v2, v10
	v_mul_hi_u32 v3, v2, v22
	v_mul_lo_u32 v3, v3, s22
	v_sub_u32_e32 v2, v2, v3
	v_subrev_u32_e32 v3, s22, v2
	v_cmp_le_u32_e32 vcc, s22, v2
	v_writelane_b32 v163, s8, 37
	v_cmp_le_u32_e64 s[26:27], s22, v29
	v_cndmask_b32_e32 v31, v2, v3, vcc
	v_sub_u32_e32 v2, 0, v11
	v_max_i32_e32 v2, v2, v11
	v_mul_hi_u32 v3, v2, v22
	v_mul_lo_u32 v3, v3, s22
	v_sub_u32_e32 v2, v2, v3
	v_subrev_u32_e32 v3, s22, v2
	v_cmp_le_u32_e32 vcc, s22, v2
	v_writelane_b32 v163, s9, 38
	v_cmp_le_u32_e64 s[8:9], s22, v27
	v_cndmask_b32_e32 v32, v2, v3, vcc
	v_sub_u32_e32 v2, 0, v13
	v_max_i32_e32 v2, v2, v13
	v_mul_hi_u32 v3, v2, v22
	v_mul_lo_u32 v3, v3, s22
	v_sub_u32_e32 v2, v2, v3
	v_subrev_u32_e32 v3, s22, v2
	v_cmp_le_u32_e32 vcc, s22, v2
	v_writelane_b32 v163, s8, 39
	v_cmp_le_u32_e64 s[28:29], s22, v30
	v_cndmask_b32_e32 v33, v2, v3, vcc
	v_sub_u32_e32 v2, 0, v14
	v_max_i32_e32 v2, v2, v14
	v_mul_hi_u32 v3, v2, v22
	v_mul_lo_u32 v3, v3, s22
	v_sub_u32_e32 v2, v2, v3
	v_subrev_u32_e32 v3, s22, v2
	v_cmp_le_u32_e32 vcc, s22, v2
	v_writelane_b32 v163, s9, 40
	v_cmp_le_u32_e64 s[8:9], s22, v28
	v_cndmask_b32_e32 v34, v2, v3, vcc
	v_sub_u32_e32 v2, 0, v15
	v_max_i32_e32 v2, v2, v15
	v_mul_hi_u32 v3, v2, v22
	v_mul_lo_u32 v3, v3, s22
	v_sub_u32_e32 v2, v2, v3
	v_subrev_u32_e32 v3, s22, v2
	v_cmp_le_u32_e32 vcc, s22, v2
	v_writelane_b32 v163, s8, 41
	v_cmp_le_u32_e64 s[24:25], s22, v32
	v_cndmask_b32_e32 v35, v2, v3, vcc
	v_sub_u32_e32 v2, 0, v20
	v_max_i32_e32 v2, v2, v20
	v_mul_hi_u32 v3, v2, v22
	v_mul_lo_u32 v3, v3, s22
	v_sub_u32_e32 v2, v2, v3
	v_subrev_u32_e32 v3, s22, v2
	v_cmp_le_u32_e32 vcc, s22, v2
	v_writelane_b32 v163, s9, 42
	v_writelane_b32 v163, s34, 43
	v_cndmask_b32_e32 v36, v2, v3, vcc
	v_sub_u32_e32 v2, 0, v21
	v_max_i32_e32 v2, v2, v21
	v_mul_hi_u32 v3, v2, v22
	v_mul_lo_u32 v3, v3, s22
	v_sub_u32_e32 v2, v2, v3
	v_subrev_u32_e32 v3, s22, v2
	v_cmp_le_u32_e32 vcc, s22, v2
	v_writelane_b32 v163, s14, 44
	.loc	1 170 8                         ; fused_moe_aot.py:170:8
	s_add_u32 s14, s2, s14
	.loc	1 167 81                        ; fused_moe_aot.py:167:81
	v_cndmask_b32_e32 v37, v2, v3, vcc
	v_sub_u32_e32 v2, 0, v23
	v_max_i32_e32 v2, v2, v23
	v_mul_hi_u32 v3, v2, v22
	v_mul_lo_u32 v3, v3, s22
	v_sub_u32_e32 v2, v2, v3
	v_subrev_u32_e32 v3, s22, v2
	v_cmp_le_u32_e32 vcc, s22, v2
	.loc	1 170 69                        ; fused_moe_aot.py:170:69
	v_mul_lo_u32 v20, s31, v16
	v_writelane_b32 v163, s15, 45
	.loc	1 170 8 is_stmt 0               ; fused_moe_aot.py:170:8
	s_addc_u32 s15, s3, s15
.Ltmp10:
	.loc	2 43 17 is_stmt 1               ; standard.py:43:17 @[ fused_moe_aot.py:215:33 ]
	s_add_i32 s61, s60, 63
.Ltmp11:
	.loc	1 167 81                        ; fused_moe_aot.py:167:81
	v_cndmask_b32_e32 v38, v2, v3, vcc
	.loc	1 170 51                        ; fused_moe_aot.py:170:51
	v_ashrrev_i32_e32 v21, 31, v20
	.loc	1 215 22                        ; fused_moe_aot.py:215:22
	s_cmp_gt_i32 s61, 63
	.loc	1 220 58                        ; fused_moe_aot.py:220:58
	v_cmp_gt_i32_e32 vcc, s60, v16
	.loc	1 170 8                         ; fused_moe_aot.py:170:8
	v_lshl_add_u64 v[2:3], s[14:15], 0, v[20:21]
	.loc	1 215 22                        ; fused_moe_aot.py:215:22
	s_cselect_b64 s[14:15], -1, 0
	.loc	1 220 40                        ; fused_moe_aot.py:220:40
	s_and_b64 s[16:17], vcc, s[86:87]
	.loc	1 167 81                        ; fused_moe_aot.py:167:81
	v_cmp_le_u32_e64 s[8:9], s22, v31
	v_cmp_le_u32_e64 s[36:37], s22, v33
	;; [unrolled: 1-line block ×7, first 2 shown]
	.loc	1 215 22                        ; fused_moe_aot.py:215:22
	s_and_b64 s[18:19], s[14:15], s[16:17]
	.loc	1 219 12                        ; fused_moe_aot.py:219:12
	s_and_saveexec_b64 s[16:17], s[18:19]
	s_cbranch_execz .LBB0_4
; %bb.3:
	global_load_ubyte v55, v[2:3], off
.LBB0_4:
	.loc	1 0 12 is_stmt 0                ; fused_moe_aot.py:0:12
	s_or_b64 exec, exec, s[16:17]
	.loc	1 170 39 is_stmt 1              ; fused_moe_aot.py:170:39
	s_mul_i32 s16, s72, s30
	s_mul_hi_i32 s17, s72, s30
	v_writelane_b32 v163, s16, 46
	.loc	1 170 8 is_stmt 0               ; fused_moe_aot.py:170:8
	s_add_u32 s16, s2, s16
	v_writelane_b32 v163, s17, 47
	s_addc_u32 s17, s3, s17
	v_lshl_add_u64 v[4:5], s[16:17], 0, v[20:21]
	.loc	1 220 40 is_stmt 1              ; fused_moe_aot.py:220:40
	v_readlane_b32 s16, v163, 0
	v_readlane_b32 s17, v163, 1
	s_and_b64 s[16:17], vcc, s[16:17]
	.loc	1 215 22                        ; fused_moe_aot.py:215:22
	s_and_b64 s[18:19], s[14:15], s[16:17]
	v_mov_b32_e32 v122, 0
	v_mov_b32_e32 v125, 0
	.loc	1 219 12                        ; fused_moe_aot.py:219:12
	s_and_saveexec_b64 s[16:17], s[18:19]
	s_cbranch_execz .LBB0_6
; %bb.5:
	global_load_ubyte v125, v[4:5], off
.LBB0_6:
	.loc	1 0 12 is_stmt 0                ; fused_moe_aot.py:0:12
	s_or_b64 exec, exec, s[16:17]
	.loc	1 170 39 is_stmt 1              ; fused_moe_aot.py:170:39
	s_mul_i32 s16, s71, s30
	s_mul_hi_i32 s17, s71, s30
	v_writelane_b32 v163, s16, 48
	.loc	1 170 8 is_stmt 0               ; fused_moe_aot.py:170:8
	s_add_u32 s16, s2, s16
	v_writelane_b32 v163, s17, 49
	s_addc_u32 s17, s3, s17
	v_lshl_add_u64 v[6:7], s[16:17], 0, v[20:21]
	.loc	1 220 40 is_stmt 1              ; fused_moe_aot.py:220:40
	v_readlane_b32 s16, v163, 2
	v_readlane_b32 s17, v163, 3
	s_and_b64 s[16:17], vcc, s[16:17]
	.loc	1 215 22                        ; fused_moe_aot.py:215:22
	s_and_b64 s[18:19], s[14:15], s[16:17]
	.loc	1 219 12                        ; fused_moe_aot.py:219:12
	s_and_saveexec_b64 s[16:17], s[18:19]
	s_cbranch_execz .LBB0_8
; %bb.7:
	global_load_ubyte v122, v[6:7], off
.LBB0_8:
	.loc	1 0 12 is_stmt 0                ; fused_moe_aot.py:0:12
	s_or_b64 exec, exec, s[16:17]
	.loc	1 170 39 is_stmt 1              ; fused_moe_aot.py:170:39
	s_mul_i32 s16, s70, s30
	s_mul_hi_i32 s17, s70, s30
	v_writelane_b32 v163, s16, 50
	.loc	1 170 8 is_stmt 0               ; fused_moe_aot.py:170:8
	s_add_u32 s16, s2, s16
	v_writelane_b32 v163, s17, 51
	s_addc_u32 s17, s3, s17
	v_lshl_add_u64 v[8:9], s[16:17], 0, v[20:21]
	.loc	1 220 40 is_stmt 1              ; fused_moe_aot.py:220:40
	v_readlane_b32 s16, v163, 4
	v_readlane_b32 s17, v163, 5
	s_and_b64 s[16:17], vcc, s[16:17]
	.loc	1 215 22                        ; fused_moe_aot.py:215:22
	s_and_b64 s[18:19], s[14:15], s[16:17]
	v_mov_b32_e32 v124, 0
	v_mov_b32_e32 v127, 0
	.loc	1 219 12                        ; fused_moe_aot.py:219:12
	s_and_saveexec_b64 s[16:17], s[18:19]
	s_cbranch_execz .LBB0_10
; %bb.9:
	global_load_ubyte v127, v[8:9], off
.LBB0_10:
	.loc	1 0 12 is_stmt 0                ; fused_moe_aot.py:0:12
	s_or_b64 exec, exec, s[16:17]
	.loc	1 170 39 is_stmt 1              ; fused_moe_aot.py:170:39
	s_mul_i32 s16, s69, s30
	s_mul_hi_i32 s17, s69, s30
	v_writelane_b32 v163, s16, 52
	.loc	1 170 8 is_stmt 0               ; fused_moe_aot.py:170:8
	s_add_u32 s16, s2, s16
	v_writelane_b32 v163, s17, 53
	s_addc_u32 s17, s3, s17
	v_lshl_add_u64 v[10:11], s[16:17], 0, v[20:21]
	.loc	1 220 40 is_stmt 1              ; fused_moe_aot.py:220:40
	v_readlane_b32 s16, v163, 6
	v_readlane_b32 s17, v163, 7
	s_and_b64 s[16:17], vcc, s[16:17]
	;; [unrolled: 48-line block ×4, first 2 shown]
	.loc	1 215 22                        ; fused_moe_aot.py:215:22
	s_and_b64 s[18:19], s[14:15], s[16:17]
	.loc	1 219 12                        ; fused_moe_aot.py:219:12
	s_and_saveexec_b64 s[16:17], s[18:19]
	s_cbranch_execz .LBB0_20
; %bb.19:
	global_load_ubyte v131, v[74:75], off
.LBB0_20:
	.loc	1 0 12 is_stmt 0                ; fused_moe_aot.py:0:12
	s_or_b64 exec, exec, s[16:17]
	.loc	1 170 39 is_stmt 1              ; fused_moe_aot.py:170:39
	s_mul_i32 s16, s64, s30
	s_mul_hi_i32 s17, s64, s30
	v_writelane_b32 v163, s16, 62
	.loc	1 170 8 is_stmt 0               ; fused_moe_aot.py:170:8
	s_add_u32 s16, s2, s16
	v_writelane_b32 v163, s17, 63
	s_addc_u32 s17, s3, s17
	v_lshl_add_u64 v[76:77], s[16:17], 0, v[20:21]
	.loc	1 220 40 is_stmt 1              ; fused_moe_aot.py:220:40
	v_readlane_b32 s16, v163, 16
	v_readlane_b32 s17, v163, 17
	s_and_b64 s[16:17], vcc, s[16:17]
	.loc	1 215 22                        ; fused_moe_aot.py:215:22
	s_and_b64 s[18:19], s[14:15], s[16:17]
	v_mov_b32_e32 v132, 0
	v_mov_b32_e32 v133, 0
	.loc	1 219 12                        ; fused_moe_aot.py:219:12
	s_and_saveexec_b64 s[16:17], s[18:19]
	s_cbranch_execz .LBB0_22
; %bb.21:
	global_load_ubyte v133, v[76:77], off
.LBB0_22:
	.loc	1 0 12 is_stmt 0                ; fused_moe_aot.py:0:12
	s_or_b64 exec, exec, s[16:17]
	.loc	1 170 39 is_stmt 1              ; fused_moe_aot.py:170:39
	s_mul_i32 s16, s63, s30
                                        ; implicit-def: $vgpr162 : SGPR spill to VGPR lane
	s_mul_hi_i32 s17, s63, s30
	v_writelane_b32 v162, s16, 0
	.loc	1 170 8 is_stmt 0               ; fused_moe_aot.py:170:8
	s_add_u32 s16, s2, s16
	v_writelane_b32 v162, s17, 1
	s_addc_u32 s17, s3, s17
	v_lshl_add_u64 v[78:79], s[16:17], 0, v[20:21]
	.loc	1 220 40 is_stmt 1              ; fused_moe_aot.py:220:40
	v_readlane_b32 s16, v163, 18
	v_readlane_b32 s17, v163, 19
	s_and_b64 s[16:17], vcc, s[16:17]
	.loc	1 0 0 is_stmt 0                 ; fused_moe_aot.py:0
	v_or_b32_e32 v23, s20, v16
	.loc	1 215 22 is_stmt 1              ; fused_moe_aot.py:215:22
	s_and_b64 s[18:19], s[14:15], s[16:17]
	.loc	1 219 12                        ; fused_moe_aot.py:219:12
	s_and_saveexec_b64 s[16:17], s[18:19]
	s_cbranch_execz .LBB0_24
; %bb.23:
	global_load_ubyte v132, v[78:79], off
.LBB0_24:
	.loc	1 0 12 is_stmt 0                ; fused_moe_aot.py:0:12
	s_or_b64 exec, exec, s[16:17]
	.loc	1 170 39 is_stmt 1              ; fused_moe_aot.py:170:39
	s_mul_i32 s16, s23, s30
	s_mul_hi_i32 s17, s23, s30
	v_writelane_b32 v162, s16, 2
	.loc	1 170 8 is_stmt 0               ; fused_moe_aot.py:170:8
	s_add_u32 s16, s2, s16
	v_writelane_b32 v162, s17, 3
	s_addc_u32 s17, s3, s17
	v_lshl_add_u64 v[80:81], s[16:17], 0, v[20:21]
	.loc	1 220 40 is_stmt 1              ; fused_moe_aot.py:220:40
	v_readlane_b32 s16, v163, 20
	v_readlane_b32 s17, v163, 21
	s_and_b64 s[16:17], vcc, s[16:17]
	.loc	1 0 0 is_stmt 0                 ; fused_moe_aot.py:0
	v_sub_u32_e32 v39, 0, v23
	.loc	1 215 22 is_stmt 1              ; fused_moe_aot.py:215:22
	s_and_b64 s[18:19], s[14:15], s[16:17]
	v_mov_b32_e32 v135, 0
	v_mov_b32_e32 v134, 0
	.loc	1 219 12                        ; fused_moe_aot.py:219:12
	s_and_saveexec_b64 s[16:17], s[18:19]
	s_cbranch_execz .LBB0_26
; %bb.25:
	global_load_ubyte v134, v[80:81], off
.LBB0_26:
	.loc	1 0 12 is_stmt 0                ; fused_moe_aot.py:0:12
	s_or_b64 exec, exec, s[16:17]
	.loc	1 170 39 is_stmt 1              ; fused_moe_aot.py:170:39
	s_mul_i32 s16, s21, s30
	s_mul_hi_i32 s17, s21, s30
	v_writelane_b32 v162, s16, 4
	.loc	1 170 8 is_stmt 0               ; fused_moe_aot.py:170:8
	s_add_u32 s16, s2, s16
	v_writelane_b32 v162, s17, 5
	s_addc_u32 s17, s3, s17
	v_lshl_add_u64 v[82:83], s[16:17], 0, v[20:21]
	.loc	1 220 40 is_stmt 1              ; fused_moe_aot.py:220:40
	v_readlane_b32 s16, v163, 22
	v_readlane_b32 s17, v163, 23
	s_and_b64 s[16:17], vcc, s[16:17]
	.loc	1 0 0 is_stmt 0                 ; fused_moe_aot.py:0
	v_max_i32_e32 v39, v39, v23
	.loc	1 215 22 is_stmt 1              ; fused_moe_aot.py:215:22
	s_and_b64 s[18:19], s[14:15], s[16:17]
	.loc	1 219 12                        ; fused_moe_aot.py:219:12
	s_and_saveexec_b64 s[16:17], s[18:19]
	s_cbranch_execz .LBB0_28
; %bb.27:
	global_load_ubyte v135, v[82:83], off
.LBB0_28:
	.loc	1 0 12 is_stmt 0                ; fused_moe_aot.py:0:12
	s_or_b64 exec, exec, s[16:17]
	v_mad_u64_u32 v[22:23], s[16:17], v39, v22, 0
	.loc	1 170 39 is_stmt 1              ; fused_moe_aot.py:170:39
	s_mul_i32 s57, s85, s30
	s_mul_hi_i32 s59, s85, s30
	.loc	1 170 8 is_stmt 0               ; fused_moe_aot.py:170:8
	s_add_u32 s16, s2, s57
	s_addc_u32 s17, s3, s59
	v_lshl_add_u64 v[84:85], s[16:17], 0, v[20:21]
	.loc	1 220 40 is_stmt 1              ; fused_moe_aot.py:220:40
	v_readlane_b32 s16, v163, 24
	v_readlane_b32 s17, v163, 25
	s_and_b64 s[16:17], vcc, s[16:17]
	.loc	1 215 22                        ; fused_moe_aot.py:215:22
	s_and_b64 s[18:19], s[14:15], s[16:17]
	v_mov_b32_e32 v136, 0
	v_mov_b32_e32 v137, 0
	.loc	1 219 12                        ; fused_moe_aot.py:219:12
	s_and_saveexec_b64 s[16:17], s[18:19]
	s_cbranch_execz .LBB0_30
; %bb.29:
	global_load_ubyte v137, v[84:85], off
.LBB0_30:
	.loc	1 0 12 is_stmt 0                ; fused_moe_aot.py:0:12
	s_or_b64 exec, exec, s[16:17]
	s_ashr_i32 s80, s20, 31
	.loc	1 170 39 is_stmt 1              ; fused_moe_aot.py:170:39
	s_mul_i32 s55, s84, s30
	s_mul_hi_i32 s54, s84, s30
	.loc	1 170 8 is_stmt 0               ; fused_moe_aot.py:170:8
	s_add_u32 s16, s2, s55
	s_addc_u32 s17, s3, s54
	v_lshl_add_u64 v[86:87], s[16:17], 0, v[20:21]
	.loc	1 220 40 is_stmt 1              ; fused_moe_aot.py:220:40
	v_readlane_b32 s16, v163, 26
	v_readlane_b32 s17, v163, 27
	s_and_b64 s[16:17], vcc, s[16:17]
	.loc	1 215 22                        ; fused_moe_aot.py:215:22
	s_and_b64 s[18:19], s[14:15], s[16:17]
	.loc	1 219 12                        ; fused_moe_aot.py:219:12
	s_and_saveexec_b64 s[16:17], s[18:19]
	s_cbranch_execz .LBB0_32
; %bb.31:
	global_load_ubyte v136, v[86:87], off
.LBB0_32:
	.loc	1 0 12 is_stmt 0                ; fused_moe_aot.py:0:12
	s_or_b64 exec, exec, s[16:17]
	.loc	1 170 39 is_stmt 1              ; fused_moe_aot.py:170:39
	s_mul_hi_i32 s52, s81, s30
	s_mul_i32 s30, s81, s30
	.loc	1 170 8 is_stmt 0               ; fused_moe_aot.py:170:8
	s_add_u32 s16, s2, s30
	s_load_dwordx2 s[34:35], s[0:1], 0x68
	s_load_dword s53, s[0:1], 0x70
	s_addc_u32 s17, s3, s52
	v_lshl_add_u64 v[88:89], s[16:17], 0, v[20:21]
	.loc	1 220 40 is_stmt 1              ; fused_moe_aot.py:220:40
	v_readlane_b32 s16, v163, 28
	v_readlane_b32 s17, v163, 29
	s_and_b64 s[16:17], vcc, s[16:17]
	.loc	1 215 22                        ; fused_moe_aot.py:215:22
	s_and_b64 s[18:19], s[14:15], s[16:17]
	v_mov_b32_e32 v138, 0
	.loc	1 219 12                        ; fused_moe_aot.py:219:12
	s_and_saveexec_b64 s[16:17], s[18:19]
	s_cbranch_execz .LBB0_34
; %bb.33:
	global_load_ubyte v138, v[88:89], off
.LBB0_34:
	.loc	1 0 12 is_stmt 0                ; fused_moe_aot.py:0:12
	s_or_b64 exec, exec, s[16:17]
	.loc	1 167 81 is_stmt 1              ; fused_moe_aot.py:167:81
	v_mul_lo_u32 v22, v23, s22
	v_sub_u32_e32 v22, v39, v22
	v_subrev_u32_e32 v23, s22, v22
	v_cmp_le_u32_e32 vcc, s22, v22
	.loc	1 175 24                        ; fused_moe_aot.py:175:24
	s_waitcnt lgkmcnt(0)
	s_mul_hi_i32 s58, s79, s34
	s_mul_i32 s34, s79, s34
	.loc	1 167 81                        ; fused_moe_aot.py:167:81
	v_cndmask_b32_e32 v22, v22, v23, vcc
	v_subrev_u32_e32 v23, s22, v22
	v_cmp_le_u32_e32 vcc, s22, v22
	.loc	1 175 10                        ; fused_moe_aot.py:175:10
	s_add_u32 s16, s4, s34
	s_addc_u32 s17, s5, s58
	.loc	1 167 81                        ; fused_moe_aot.py:167:81
	v_cndmask_b32_e32 v22, v22, v23, vcc
	v_xor_b32_e32 v22, s80, v22
	.loc	1 176 29                        ; fused_moe_aot.py:176:29
	s_mul_i32 s82, s62, s35
	.loc	1 167 81                        ; fused_moe_aot.py:167:81
	v_subrev_u32_e32 v129, s80, v22
	.loc	1 176 41                        ; fused_moe_aot.py:176:41
	s_ashr_i32 s83, s82, 31
	.loc	1 176 11 is_stmt 0              ; fused_moe_aot.py:176:11
	v_mov_b64_e32 v[22:23], s[16:17]
	v_mad_i64_i32 v[22:23], s[16:17], v129, s53, v[22:23]
	.loc	1 223 51 is_stmt 1              ; fused_moe_aot.py:223:51
	s_cmp_ge_i32 s62, s60
	s_cselect_b64 s[16:17], -1, 0
	.loc	1 215 22                        ; fused_moe_aot.py:215:22
	s_xor_b64 s[48:49], s[14:15], -1
	.loc	1 223 20                        ; fused_moe_aot.py:223:20
	s_or_b64 s[16:17], s[48:49], s[16:17]
	.loc	1 176 11                        ; fused_moe_aot.py:176:11
	v_lshl_add_u64 v[90:91], v[22:23], 0, s[82:83]
	.loc	1 223 20                        ; fused_moe_aot.py:223:20
	s_and_b64 vcc, exec, s[16:17]
	v_writelane_b32 v162, s63, 6
	s_cbranch_vccnz .LBB0_37
; %bb.35:
	global_load_ubyte v139, v[90:91], off
	s_branch .LBB0_38
.LBB0_36:
	.loc	1 0 20 is_stmt 0                ; fused_moe_aot.py:0:20
	s_mov_b64 s[0:1], 0
                                        ; implicit-def: $vgpr0_vgpr1
                                        ; implicit-def: $vgpr2
	s_cbranch_execnz .LBB0_293
	s_branch .LBB0_324
.LBB0_37:
	v_mov_b32_e32 v139, 0
.LBB0_38:
	.loc	1 176 29 is_stmt 1              ; fused_moe_aot.py:176:29
	s_lshl2_add_u32 s16, s35, s82
	.loc	1 129 24                        ; fused_moe_aot.py:129:24
	s_or_b32 s63, s62, 4
	.loc	1 176 41                        ; fused_moe_aot.py:176:41
	s_ashr_i32 s17, s16, 31
	v_writelane_b32 v162, s16, 7
	.loc	1 223 51                        ; fused_moe_aot.py:223:51
	s_cmp_ge_i32 s63, s60
	s_nop 0
	v_writelane_b32 v162, s17, 8
	.loc	1 176 11                        ; fused_moe_aot.py:176:11
	v_lshl_add_u64 v[92:93], v[22:23], 0, s[16:17]
	.loc	1 223 51                        ; fused_moe_aot.py:223:51
	s_cselect_b64 s[16:17], -1, 0
	.loc	1 223 20 is_stmt 0              ; fused_moe_aot.py:223:20
	s_or_b64 s[16:17], s[48:49], s[16:17]
	s_and_b64 vcc, exec, s[16:17]
	v_writelane_b32 v162, s64, 9
	s_cbranch_vccnz .LBB0_40
; %bb.39:
	global_load_ubyte v140, v[92:93], off
	s_branch .LBB0_41
.LBB0_40:
	.loc	1 0 20                          ; fused_moe_aot.py:0:20
	v_mov_b32_e32 v140, 0
.LBB0_41:
	.loc	1 176 29 is_stmt 1              ; fused_moe_aot.py:176:29
	s_lshl3_add_u32 s16, s35, s82
	.loc	1 129 24                        ; fused_moe_aot.py:129:24
	s_or_b32 s64, s62, 8
	.loc	1 176 41                        ; fused_moe_aot.py:176:41
	s_ashr_i32 s17, s16, 31
	v_writelane_b32 v162, s16, 10
	.loc	1 223 51                        ; fused_moe_aot.py:223:51
	s_cmp_ge_i32 s64, s60
	s_nop 0
	v_writelane_b32 v162, s17, 11
	.loc	1 176 11                        ; fused_moe_aot.py:176:11
	v_lshl_add_u64 v[94:95], v[22:23], 0, s[16:17]
	.loc	1 223 51                        ; fused_moe_aot.py:223:51
	s_cselect_b64 s[16:17], -1, 0
	.loc	1 223 20 is_stmt 0              ; fused_moe_aot.py:223:20
	s_or_b64 s[16:17], s[48:49], s[16:17]
	s_and_b64 vcc, exec, s[16:17]
	v_writelane_b32 v162, s65, 12
	s_cbranch_vccnz .LBB0_43
; %bb.42:
	global_load_ubyte v141, v[94:95], off
	s_branch .LBB0_44
.LBB0_43:
	.loc	1 0 20                          ; fused_moe_aot.py:0:20
	v_mov_b32_e32 v141, 0
.LBB0_44:
	.loc	1 176 29 is_stmt 1              ; fused_moe_aot.py:176:29
	s_mul_i32 s16, s35, 12
	s_add_i32 s88, s82, s16
	.loc	1 129 24                        ; fused_moe_aot.py:129:24
	s_or_b32 s65, s62, 12
	.loc	1 176 41                        ; fused_moe_aot.py:176:41
	s_ashr_i32 s89, s88, 31
	.loc	1 223 51                        ; fused_moe_aot.py:223:51
	s_cmp_ge_i32 s65, s60
	s_cselect_b64 s[16:17], -1, 0
	.loc	1 223 20 is_stmt 0              ; fused_moe_aot.py:223:20
	s_or_b64 s[16:17], s[48:49], s[16:17]
	.loc	1 176 11 is_stmt 1              ; fused_moe_aot.py:176:11
	v_lshl_add_u64 v[96:97], v[22:23], 0, s[88:89]
	.loc	1 223 20                        ; fused_moe_aot.py:223:20
	s_and_b64 vcc, exec, s[16:17]
	v_writelane_b32 v162, s66, 13
	s_cbranch_vccnz .LBB0_46
; %bb.45:
	global_load_ubyte v142, v[96:97], off
	s_branch .LBB0_47
.LBB0_46:
	.loc	1 0 20 is_stmt 0                ; fused_moe_aot.py:0:20
	v_mov_b32_e32 v142, 0
.LBB0_47:
	.loc	1 176 29 is_stmt 1              ; fused_moe_aot.py:176:29
	s_lshl4_add_u32 s90, s35, s82
	.loc	1 129 24                        ; fused_moe_aot.py:129:24
	s_or_b32 s66, s62, 16
	.loc	1 176 41                        ; fused_moe_aot.py:176:41
	s_ashr_i32 s91, s90, 31
	.loc	1 223 51                        ; fused_moe_aot.py:223:51
	s_cmp_ge_i32 s66, s60
	s_cselect_b64 s[16:17], -1, 0
	.loc	1 223 20 is_stmt 0              ; fused_moe_aot.py:223:20
	s_or_b64 s[16:17], s[48:49], s[16:17]
	.loc	1 176 11 is_stmt 1              ; fused_moe_aot.py:176:11
	v_lshl_add_u64 v[98:99], v[22:23], 0, s[90:91]
	.loc	1 223 20                        ; fused_moe_aot.py:223:20
	s_and_b64 vcc, exec, s[16:17]
	v_writelane_b32 v162, s67, 14
	s_cbranch_vccnz .LBB0_49
; %bb.48:
	global_load_ubyte v143, v[98:99], off
	s_branch .LBB0_50
.LBB0_49:
	.loc	1 0 20 is_stmt 0                ; fused_moe_aot.py:0:20
	v_mov_b32_e32 v143, 0
.LBB0_50:
	.loc	1 176 29 is_stmt 1              ; fused_moe_aot.py:176:29
	s_mul_i32 s16, s35, 20
	s_add_i32 s92, s82, s16
	.loc	1 129 24                        ; fused_moe_aot.py:129:24
	s_or_b32 s67, s62, 20
	.loc	1 176 41                        ; fused_moe_aot.py:176:41
	s_ashr_i32 s93, s92, 31
	.loc	1 223 51                        ; fused_moe_aot.py:223:51
	s_cmp_ge_i32 s67, s60
	s_cselect_b64 s[16:17], -1, 0
	.loc	1 223 20 is_stmt 0              ; fused_moe_aot.py:223:20
	s_or_b64 s[16:17], s[48:49], s[16:17]
	.loc	1 176 11 is_stmt 1              ; fused_moe_aot.py:176:11
	v_lshl_add_u64 v[100:101], v[22:23], 0, s[92:93]
	.loc	1 223 20                        ; fused_moe_aot.py:223:20
	s_and_b64 vcc, exec, s[16:17]
	v_writelane_b32 v162, s68, 15
	s_cbranch_vccnz .LBB0_52
; %bb.51:
	global_load_ubyte v144, v[100:101], off
	s_branch .LBB0_53
.LBB0_52:
	.loc	1 0 20 is_stmt 0                ; fused_moe_aot.py:0:20
	v_mov_b32_e32 v144, 0
.LBB0_53:
	.loc	1 176 29 is_stmt 1              ; fused_moe_aot.py:176:29
	s_mul_i32 s16, s35, 24
	s_add_i32 s94, s82, s16
	;; [unrolled: 25-line block ×3, first 2 shown]
	.loc	1 129 24                        ; fused_moe_aot.py:129:24
	s_or_b32 s69, s62, 28
	.loc	1 176 41                        ; fused_moe_aot.py:176:41
	s_ashr_i32 s97, s96, 31
	.loc	1 223 51                        ; fused_moe_aot.py:223:51
	s_cmp_ge_i32 s69, s60
	s_cselect_b64 s[16:17], -1, 0
	.loc	1 223 20 is_stmt 0              ; fused_moe_aot.py:223:20
	s_or_b64 s[16:17], s[48:49], s[16:17]
	.loc	1 176 11 is_stmt 1              ; fused_moe_aot.py:176:11
	v_lshl_add_u64 v[104:105], v[22:23], 0, s[96:97]
	.loc	1 223 20                        ; fused_moe_aot.py:223:20
	s_and_b64 vcc, exec, s[16:17]
	v_writelane_b32 v162, s70, 17
	s_cbranch_vccnz .LBB0_58
; %bb.57:
	global_load_ubyte v146, v[104:105], off
	s_branch .LBB0_59
.LBB0_58:
	.loc	1 0 20 is_stmt 0                ; fused_moe_aot.py:0:20
	v_mov_b32_e32 v146, 0
.LBB0_59:
	.loc	1 176 29 is_stmt 1              ; fused_moe_aot.py:176:29
	s_lshl_b32 s16, s35, 5
	s_add_i32 s98, s82, s16
	.loc	1 129 24                        ; fused_moe_aot.py:129:24
	s_or_b32 s70, s62, 32
	.loc	1 176 41                        ; fused_moe_aot.py:176:41
	s_ashr_i32 s99, s98, 31
	.loc	1 223 51                        ; fused_moe_aot.py:223:51
	s_cmp_ge_i32 s70, s60
	s_cselect_b64 s[16:17], -1, 0
	.loc	1 223 20 is_stmt 0              ; fused_moe_aot.py:223:20
	s_or_b64 s[16:17], s[48:49], s[16:17]
	.loc	1 176 11 is_stmt 1              ; fused_moe_aot.py:176:11
	v_lshl_add_u64 v[106:107], v[22:23], 0, s[98:99]
	.loc	1 223 20                        ; fused_moe_aot.py:223:20
	s_and_b64 vcc, exec, s[16:17]
	v_writelane_b32 v162, s71, 18
	s_cbranch_vccnz .LBB0_61
; %bb.60:
	global_load_ubyte v147, v[106:107], off
	s_branch .LBB0_62
.LBB0_61:
	.loc	1 0 20 is_stmt 0                ; fused_moe_aot.py:0:20
	v_mov_b32_e32 v147, 0
.LBB0_62:
	.loc	1 176 29 is_stmt 1              ; fused_moe_aot.py:176:29
	s_mul_i32 s16, s35, 36
	s_add_i32 s16, s82, s16
	.loc	1 129 24                        ; fused_moe_aot.py:129:24
	s_or_b32 s71, s62, 36
	.loc	1 176 41                        ; fused_moe_aot.py:176:41
	s_ashr_i32 s17, s16, 31
	.loc	1 223 51                        ; fused_moe_aot.py:223:51
	s_cmp_ge_i32 s71, s60
	s_cselect_b64 s[18:19], -1, 0
	.loc	1 223 20 is_stmt 0              ; fused_moe_aot.py:223:20
	s_or_b64 s[18:19], s[48:49], s[18:19]
	v_writelane_b32 v162, s21, 19
	.loc	1 176 11 is_stmt 1              ; fused_moe_aot.py:176:11
	v_lshl_add_u64 v[108:109], v[22:23], 0, s[16:17]
	.loc	1 223 20                        ; fused_moe_aot.py:223:20
	s_and_b64 vcc, exec, s[18:19]
	v_writelane_b32 v162, s72, 20
	v_writelane_b32 v162, s20, 21
	s_cbranch_vccnz .LBB0_64
; %bb.63:
	global_load_ubyte v148, v[108:109], off
	s_branch .LBB0_65
.LBB0_64:
	.loc	1 0 20 is_stmt 0                ; fused_moe_aot.py:0:20
	v_mov_b32_e32 v148, 0
.LBB0_65:
	.loc	1 176 29 is_stmt 1              ; fused_moe_aot.py:176:29
	s_mul_i32 s18, s35, 40
	s_add_i32 s18, s82, s18
	.loc	1 129 24                        ; fused_moe_aot.py:129:24
	s_or_b32 s72, s62, 40
	.loc	1 176 41                        ; fused_moe_aot.py:176:41
	s_ashr_i32 s19, s18, 31
	.loc	1 223 51                        ; fused_moe_aot.py:223:51
	s_cmp_ge_i32 s72, s60
	s_cselect_b64 s[20:21], -1, 0
	.loc	1 223 20 is_stmt 0              ; fused_moe_aot.py:223:20
	s_or_b64 s[20:21], s[48:49], s[20:21]
	.loc	1 176 11 is_stmt 1              ; fused_moe_aot.py:176:11
	v_lshl_add_u64 v[110:111], v[22:23], 0, s[18:19]
	.loc	1 223 20                        ; fused_moe_aot.py:223:20
	s_and_b64 vcc, exec, s[20:21]
	s_cbranch_vccnz .LBB0_67
; %bb.66:
	global_load_ubyte v149, v[110:111], off
	s_branch .LBB0_68
.LBB0_67:
	.loc	1 0 20 is_stmt 0                ; fused_moe_aot.py:0:20
	v_mov_b32_e32 v149, 0
.LBB0_68:
	.loc	1 176 29 is_stmt 1              ; fused_moe_aot.py:176:29
	s_mul_i32 s20, s35, 44
	s_add_i32 s20, s82, s20
	.loc	1 129 24                        ; fused_moe_aot.py:129:24
	s_or_b32 s73, s62, 44
	.loc	1 176 41                        ; fused_moe_aot.py:176:41
	s_ashr_i32 s21, s20, 31
	.loc	1 223 51                        ; fused_moe_aot.py:223:51
	s_cmp_ge_i32 s73, s60
	s_cselect_b64 s[74:75], -1, 0
	.loc	1 223 20 is_stmt 0              ; fused_moe_aot.py:223:20
	s_or_b64 s[74:75], s[48:49], s[74:75]
	.loc	1 176 11 is_stmt 1              ; fused_moe_aot.py:176:11
	v_lshl_add_u64 v[112:113], v[22:23], 0, s[20:21]
	.loc	1 223 20                        ; fused_moe_aot.py:223:20
	s_and_b64 vcc, exec, s[74:75]
	v_writelane_b32 v162, s23, 22
	s_cbranch_vccnz .LBB0_70
; %bb.69:
	global_load_ubyte v150, v[112:113], off
	s_branch .LBB0_71
.LBB0_70:
	.loc	1 0 20 is_stmt 0                ; fused_moe_aot.py:0:20
	v_mov_b32_e32 v150, 0
.LBB0_71:
	v_subrev_u32_e32 v54, s22, v19
	v_subrev_u32_e32 v53, s22, v24
	;; [unrolled: 1-line block ×16, first 2 shown]
	.loc	1 176 29 is_stmt 1              ; fused_moe_aot.py:176:29
	s_mul_i32 s22, s35, 48
	s_add_i32 s22, s82, s22
	.loc	1 129 24                        ; fused_moe_aot.py:129:24
	s_or_b32 s74, s62, 48
	.loc	1 176 41                        ; fused_moe_aot.py:176:41
	s_ashr_i32 s23, s22, 31
	.loc	1 223 51                        ; fused_moe_aot.py:223:51
	s_cmp_ge_i32 s74, s60
	s_cselect_b64 vcc, -1, 0
	.loc	1 223 20 is_stmt 0              ; fused_moe_aot.py:223:20
	s_or_b64 vcc, s[48:49], vcc
	.loc	1 176 11 is_stmt 1              ; fused_moe_aot.py:176:11
	v_lshl_add_u64 v[114:115], v[22:23], 0, s[22:23]
	.loc	1 223 20                        ; fused_moe_aot.py:223:20
	s_and_b64 vcc, exec, vcc
	s_cbranch_vccnz .LBB0_73
; %bb.72:
	global_load_ubyte v151, v[114:115], off
	s_branch .LBB0_74
.LBB0_73:
	.loc	1 0 20 is_stmt 0                ; fused_moe_aot.py:0:20
	v_mov_b32_e32 v151, 0
.LBB0_74:
	v_readlane_b32 vcc_lo, v163, 31
	v_readlane_b32 vcc_hi, v163, 32
	v_cndmask_b32_e64 v31, v31, v42, s[8:9]
	.loc	1 176 29 is_stmt 1              ; fused_moe_aot.py:176:29
	s_mul_i32 s8, s35, 52
	v_cndmask_b32_e32 v19, v19, v54, vcc
	v_readlane_b32 vcc_lo, v163, 33
	v_readlane_b32 vcc_hi, v163, 34
	v_cndmask_b32_e64 v32, v32, v43, s[24:25]
	s_add_i32 s24, s82, s8
	v_cndmask_b32_e32 v24, v24, v53, vcc
	v_readlane_b32 vcc_lo, v163, 35
	v_readlane_b32 vcc_hi, v163, 36
	.loc	1 129 24                        ; fused_moe_aot.py:129:24
	s_or_b32 s75, s62, 52
	.loc	1 176 41                        ; fused_moe_aot.py:176:41
	s_ashr_i32 s25, s24, 31
	v_cndmask_b32_e32 v25, v25, v52, vcc
	v_readlane_b32 vcc_lo, v163, 37
	v_readlane_b32 vcc_hi, v163, 38
	.loc	1 223 51                        ; fused_moe_aot.py:223:51
	s_cmp_ge_i32 s75, s60
	s_cselect_b64 s[8:9], -1, 0
	v_cndmask_b32_e32 v26, v26, v51, vcc
	v_readlane_b32 vcc_lo, v163, 39
	v_readlane_b32 vcc_hi, v163, 40
	.loc	1 223 20 is_stmt 0              ; fused_moe_aot.py:223:20
	s_or_b64 s[8:9], s[48:49], s[8:9]
	v_cndmask_b32_e64 v29, v29, v40, s[26:27]
	v_cndmask_b32_e32 v27, v27, v50, vcc
	v_readlane_b32 vcc_lo, v163, 41
	v_readlane_b32 vcc_hi, v163, 42
	v_cndmask_b32_e64 v30, v30, v41, s[28:29]
	v_cndmask_b32_e64 v33, v33, v44, s[36:37]
	v_cndmask_b32_e32 v28, v28, v39, vcc
	v_cndmask_b32_e64 v34, v34, v45, s[38:39]
	v_cndmask_b32_e64 v35, v35, v46, s[40:41]
	;; [unrolled: 1-line block ×5, first 2 shown]
	.loc	1 176 11 is_stmt 1              ; fused_moe_aot.py:176:11
	v_lshl_add_u64 v[116:117], v[22:23], 0, s[24:25]
	.loc	1 223 20                        ; fused_moe_aot.py:223:20
	s_and_b64 vcc, exec, s[8:9]
	s_cbranch_vccnz .LBB0_76
; %bb.75:
	global_load_ubyte v47, v[116:117], off
	s_branch .LBB0_77
.LBB0_76:
	.loc	1 0 20 is_stmt 0                ; fused_moe_aot.py:0:20
	v_mov_b32_e32 v47, 0
.LBB0_77:
	.loc	1 176 29 is_stmt 1              ; fused_moe_aot.py:176:29
	s_mul_i32 s8, s35, 56
	s_add_i32 s26, s82, s8
	.loc	1 129 24                        ; fused_moe_aot.py:129:24
	s_or_b32 s76, s62, 56
	.loc	1 176 41                        ; fused_moe_aot.py:176:41
	s_ashr_i32 s27, s26, 31
	.loc	1 223 51                        ; fused_moe_aot.py:223:51
	s_cmp_ge_i32 s76, s60
	s_cselect_b64 s[8:9], -1, 0
	.loc	1 223 20 is_stmt 0              ; fused_moe_aot.py:223:20
	s_or_b64 s[8:9], s[48:49], s[8:9]
	v_xor_b32_e32 v19, s80, v19
	v_xor_b32_e32 v24, s80, v24
	;; [unrolled: 1-line block ×16, first 2 shown]
	.loc	1 176 11 is_stmt 1              ; fused_moe_aot.py:176:11
	v_lshl_add_u64 v[118:119], v[22:23], 0, s[26:27]
	.loc	1 223 20                        ; fused_moe_aot.py:223:20
	s_and_b64 vcc, exec, s[8:9]
	s_cbranch_vccnz .LBB0_79
; %bb.78:
	global_load_ubyte v48, v[118:119], off
	s_branch .LBB0_80
.LBB0_79:
	.loc	1 0 20 is_stmt 0                ; fused_moe_aot.py:0:20
	v_mov_b32_e32 v48, 0
.LBB0_80:
	.loc	1 176 29 is_stmt 1              ; fused_moe_aot.py:176:29
	s_mul_i32 s8, s35, 60
	s_load_dword s37, s[0:1], 0x8c
	s_load_dword s38, s[0:1], 0x84
	;; [unrolled: 1-line block ×3, first 2 shown]
	s_add_i32 s28, s82, s8
	s_and_b32 s36, s77, 0xc0
	.loc	1 129 24                        ; fused_moe_aot.py:129:24
	s_or_b32 s77, s62, 60
	.loc	1 176 41                        ; fused_moe_aot.py:176:41
	s_ashr_i32 s29, s28, 31
	.loc	1 223 51                        ; fused_moe_aot.py:223:51
	s_cmp_ge_i32 s77, s60
	s_cselect_b64 s[8:9], -1, 0
	.loc	1 223 20 is_stmt 0              ; fused_moe_aot.py:223:20
	s_or_b64 s[8:9], s[48:49], s[8:9]
	v_subrev_u32_e32 v38, s80, v19
	v_subrev_u32_e32 v37, s80, v24
	;; [unrolled: 1-line block ×16, first 2 shown]
	.loc	1 176 11 is_stmt 1              ; fused_moe_aot.py:176:11
	v_lshl_add_u64 v[120:121], v[22:23], 0, s[28:29]
	.loc	1 223 20                        ; fused_moe_aot.py:223:20
	s_and_b64 vcc, exec, s[8:9]
	s_cbranch_vccnz .LBB0_82
; %bb.81:
	global_load_ubyte v40, v[120:121], off
	s_branch .LBB0_83
.LBB0_82:
	.loc	1 0 20 is_stmt 0                ; fused_moe_aot.py:0:20
	v_mov_b32_e32 v40, 0
.LBB0_83:
	.loc	1 188 34 is_stmt 1              ; fused_moe_aot.py:188:34
	v_ashrrev_i32_e32 v39, 31, v38
	v_lshrrev_b32_e32 v39, 25, v39
	v_add_u32_e32 v38, v38, v39
	v_ashrrev_i32_e32 v39, 31, v37
	v_lshrrev_b32_e32 v39, 25, v39
	v_add_u32_e32 v37, v37, v39
	;; [unrolled: 3-line block ×6, first 2 shown]
	v_ashrrev_i32_e32 v39, 7, v33
	v_ashrrev_i32_e32 v33, 31, v32
	v_lshrrev_b32_e32 v33, 25, v33
	v_add_u32_e32 v32, v32, v33
	v_ashrrev_i32_e32 v42, 7, v32
	v_ashrrev_i32_e32 v32, 31, v31
	v_lshrrev_b32_e32 v32, 25, v32
	v_add_u32_e32 v31, v31, v32
	;; [unrolled: 4-line block ×9, first 2 shown]
	v_ashrrev_i32_e32 v52, 7, v24
	v_ashrrev_i32_e32 v24, 31, v19
	.loc	1 187 65                        ; fused_moe_aot.py:187:65
	s_waitcnt vmcnt(0) lgkmcnt(0)
	v_mad_i64_i32 v[22:23], s[40:41], v18, s39, 0
	.loc	1 188 34                        ; fused_moe_aot.py:188:34
	v_lshrrev_b32_e32 v24, 25, v24
	.loc	1 190 44                        ; fused_moe_aot.py:190:44
	s_mul_hi_i32 s39, s79, s38
	s_mul_i32 s38, s79, s38
	.loc	1 188 34                        ; fused_moe_aot.py:188:34
	v_add_u32_e32 v19, v19, v24
	.loc	1 190 30                        ; fused_moe_aot.py:190:30
	s_lshl_b64 s[38:39], s[38:39], 2
	.loc	1 129 24                        ; fused_moe_aot.py:129:24
	v_or_b32_e32 v41, s36, v16
	.loc	1 188 34                        ; fused_moe_aot.py:188:34
	v_ashrrev_i32_e32 v19, 7, v19
	.loc	1 190 30                        ; fused_moe_aot.py:190:30
	s_add_u32 s12, s12, s38
	s_addc_u32 s13, s13, s39
	.loc	1 190 68 is_stmt 0              ; fused_moe_aot.py:190:68
	v_mad_i64_i32 v[70:71], s[38:39], v19, s37, 0
	.loc	1 219 12 is_stmt 1              ; fused_moe_aot.py:219:12
	v_add_u32_e32 v123, 0, v41
	v_bitop3_b32 v19, s36, 16, v16 bitop3:0x36
	ds_write_b8 v123, v55
	ds_write_b8 v123, v124 offset:1024
	ds_write_b8 v123, v131 offset:2048
	;; [unrolled: 1-line block ×3, first 2 shown]
	v_add_u32_e32 v124, 0, v19
	v_bitop3_b32 v19, s36, 32, v16 bitop3:0x36
	.loc	1 188 34                        ; fused_moe_aot.py:188:34
	v_ashrrev_i32_e32 v38, 7, v38
	v_ashrrev_i32_e32 v37, 7, v37
	;; [unrolled: 1-line block ×5, first 2 shown]
	.loc	1 219 12                        ; fused_moe_aot.py:219:12
	ds_write_b8 v124, v125 offset:256
	ds_write_b8 v124, v128 offset:1280
	;; [unrolled: 1-line block ×4, first 2 shown]
	v_add_u32_e32 v125, 0, v19
	v_bitop3_b32 v19, s36, 48, v16 bitop3:0x36
	.loc	1 190 68                        ; fused_moe_aot.py:190:68
	v_mad_i64_i32 v[24:25], s[38:39], v38, s37, 0
	v_mad_i64_i32 v[26:27], s[38:39], v37, s37, 0
	;; [unrolled: 1-line block ×15, first 2 shown]
	.loc	1 219 12                        ; fused_moe_aot.py:219:12
	ds_write_b8 v125, v122 offset:512
	ds_write_b8 v125, v126 offset:1536
	ds_write_b8 v125, v132 offset:2560
	ds_write_b8 v125, v136 offset:3584
	v_add_u32_e32 v126, 0, v19
	.loc	1 146 30                        ; fused_moe_aot.py:146:30
	v_cmp_gt_i32_e64 s[8:9], s78, v18
	.loc	1 219 12                        ; fused_moe_aot.py:219:12
	s_mov_b32 s38, 0
	ds_write_b8 v126, v127 offset:768
	ds_write_b8 v126, v130 offset:1792
	;; [unrolled: 1-line block ×4, first 2 shown]
	.loc	1 223 20                        ; fused_moe_aot.py:223:20
	ds_write_b8 v123, v139 offset:4096
	ds_write_b8 v123, v143 offset:5120
	;; [unrolled: 1-line block ×16, first 2 shown]
	.loc	1 215 22                        ; fused_moe_aot.py:215:22
	s_cmpk_gt_i32 s61, 0x7f
	v_lshlrev_b32_e32 v133, 6, v1
	v_lshlrev_b32_e32 v134, 2, v0
	v_lshrrev_b32_e32 v135, 1, v17
	v_lshlrev_b32_e32 v1, 5, v0
	v_lshlrev_b32_e32 v132, 3, v0
	v_and_b32_e32 v122, 8, v0
	v_and_b32_e32 v19, 16, v0
	s_cbranch_scc1 .LBB0_85
; %bb.84:                               ; %.._crit_edge_crit_edge
	.loc	1 219 12                        ; fused_moe_aot.py:219:12
	v_lshl_or_b32 v40, s56, 4, v133
	v_bitop3_b32 v41, v134, v135, 48 bitop3:0x6c
	v_or_b32_e32 v127, v40, v41
	v_bitop3_b32 v128, v40, 32, v41 bitop3:0x36
	.loc	1 223 20                        ; fused_moe_aot.py:223:20
	v_and_b32_e32 v130, 0x4c0, v1
	v_and_b32_e32 v131, 8, v132
	s_mov_b64 s[36:37], 0
	s_branch .LBB0_86
.LBB0_85:
	.loc	1 0 20 is_stmt 0                ; fused_moe_aot.py:0:20
	s_mov_b64 s[36:37], -1
                                        ; implicit-def: $vgpr127
                                        ; implicit-def: $vgpr128
                                        ; implicit-def: $vgpr130
                                        ; implicit-def: $vgpr131
.LBB0_86:                               ; %Flow536
	s_load_dword s78, s[0:1], 0x88
	s_nop 0
	s_load_dword s0, s[0:1], 0x80
	v_lshl_add_u64 v[54:55], v[22:23], 2, s[10:11]
	v_lshl_add_u64 v[52:53], v[24:25], 2, s[12:13]
	;; [unrolled: 1-line block ×17, first 2 shown]
	s_andn2_b64 vcc, exec, s[36:37]
	v_mov_b32_e32 v57, 0
	v_mov_b32_e32 v56, 0
	;; [unrolled: 1-line block ×16, first 2 shown]
	s_waitcnt lgkmcnt(0)
	v_writelane_b32 v163, s0, 31
	s_cbranch_vccnz .LBB0_225
; %bb.87:                               ; %.lr.ph
	.loc	1 220 62 is_stmt 1              ; fused_moe_aot.py:220:62
	s_sub_i32 s12, s60, 64
	.loc	1 246 33                        ; fused_moe_aot.py:246:33
	s_lshl_b32 s0, s31, 6
	.loc	1 220 58                        ; fused_moe_aot.py:220:58
	v_cmp_gt_u32_e32 vcc, s12, v16
	s_ashr_i32 s1, s0, 31
	.loc	1 220 40 is_stmt 0              ; fused_moe_aot.py:220:40
	s_and_b64 s[36:37], s[86:87], vcc
	v_mov_b32_e32 v136, 0
	v_mov_b32_e32 v137, 0
	.loc	1 219 12 is_stmt 1              ; fused_moe_aot.py:219:12
	s_and_saveexec_b64 s[10:11], s[36:37]
	s_cbranch_execz .LBB0_89
; %bb.88:
	.loc	1 246 18                        ; fused_moe_aot.py:246:18
	v_lshl_add_u64 v[2:3], v[2:3], 0, s[0:1]
	.loc	1 219 12                        ; fused_moe_aot.py:219:12
	global_load_ubyte v137, v[2:3], off
.LBB0_89:
	.loc	1 0 12 is_stmt 0                ; fused_moe_aot.py:0:12
	s_or_b64 exec, exec, s[10:11]
	.loc	1 220 40 is_stmt 1              ; fused_moe_aot.py:220:40
	v_readlane_b32 s10, v163, 0
	v_readlane_b32 s11, v163, 1
	s_and_b64 s[36:37], s[10:11], vcc
	.loc	1 219 12                        ; fused_moe_aot.py:219:12
	s_and_saveexec_b64 s[10:11], s[36:37]
	s_cbranch_execz .LBB0_91
; %bb.90:
	.loc	1 246 18                        ; fused_moe_aot.py:246:18
	v_lshl_add_u64 v[2:3], v[4:5], 0, s[0:1]
	.loc	1 219 12                        ; fused_moe_aot.py:219:12
	global_load_ubyte v136, v[2:3], off
.LBB0_91:
	.loc	1 0 12 is_stmt 0                ; fused_moe_aot.py:0:12
	s_or_b64 exec, exec, s[10:11]
	.loc	1 220 40 is_stmt 1              ; fused_moe_aot.py:220:40
	v_readlane_b32 s10, v163, 2
	v_readlane_b32 s11, v163, 3
	s_and_b64 s[36:37], s[10:11], vcc
	v_mov_b32_e32 v138, 0
	v_mov_b32_e32 v139, 0
	.loc	1 219 12                        ; fused_moe_aot.py:219:12
	s_and_saveexec_b64 s[10:11], s[36:37]
	s_cbranch_execz .LBB0_93
; %bb.92:
	.loc	1 246 18                        ; fused_moe_aot.py:246:18
	v_lshl_add_u64 v[2:3], v[6:7], 0, s[0:1]
	.loc	1 219 12                        ; fused_moe_aot.py:219:12
	global_load_ubyte v139, v[2:3], off
.LBB0_93:
	.loc	1 0 12 is_stmt 0                ; fused_moe_aot.py:0:12
	s_or_b64 exec, exec, s[10:11]
	.loc	1 220 40 is_stmt 1              ; fused_moe_aot.py:220:40
	v_readlane_b32 s10, v163, 4
	v_readlane_b32 s11, v163, 5
	s_and_b64 s[36:37], s[10:11], vcc
	.loc	1 219 12                        ; fused_moe_aot.py:219:12
	s_and_saveexec_b64 s[10:11], s[36:37]
	s_cbranch_execz .LBB0_95
; %bb.94:
	.loc	1 246 18                        ; fused_moe_aot.py:246:18
	v_lshl_add_u64 v[2:3], v[8:9], 0, s[0:1]
	.loc	1 219 12                        ; fused_moe_aot.py:219:12
	global_load_ubyte v138, v[2:3], off
.LBB0_95:
	.loc	1 0 12 is_stmt 0                ; fused_moe_aot.py:0:12
	s_or_b64 exec, exec, s[10:11]
	.loc	1 220 40 is_stmt 1              ; fused_moe_aot.py:220:40
	v_readlane_b32 s10, v163, 6
	v_readlane_b32 s11, v163, 7
	s_and_b64 s[36:37], s[10:11], vcc
	v_mov_b32_e32 v140, 0
	v_mov_b32_e32 v141, 0
	.loc	1 219 12                        ; fused_moe_aot.py:219:12
	;; [unrolled: 32-line block ×7, first 2 shown]
	s_and_saveexec_b64 s[10:11], s[36:37]
	s_cbranch_execz .LBB0_117
; %bb.116:
	.loc	1 246 18                        ; fused_moe_aot.py:246:18
	v_lshl_add_u64 v[2:3], v[86:87], 0, s[0:1]
	.loc	1 219 12                        ; fused_moe_aot.py:219:12
	global_load_ubyte v83, v[2:3], off
.LBB0_117:
	.loc	1 0 12 is_stmt 0                ; fused_moe_aot.py:0:12
	s_or_b64 exec, exec, s[10:11]
	.loc	1 220 40 is_stmt 1              ; fused_moe_aot.py:220:40
	v_readlane_b32 s10, v163, 28
	v_readlane_b32 s11, v163, 29
	s_and_b64 s[36:37], s[10:11], vcc
	.loc	1 219 12                        ; fused_moe_aot.py:219:12
	s_and_saveexec_b64 s[10:11], s[36:37]
	s_cbranch_execz .LBB0_119
; %bb.118:
	.loc	1 246 18                        ; fused_moe_aot.py:246:18
	v_lshl_add_u64 v[2:3], v[88:89], 0, s[0:1]
	.loc	1 219 12                        ; fused_moe_aot.py:219:12
	global_load_ubyte v82, v[2:3], off
.LBB0_119:
	.loc	1 0 12 is_stmt 0                ; fused_moe_aot.py:0:12
	s_or_b64 exec, exec, s[10:11]
	v_lshl_or_b32 v2, s56, 4, v133
	v_bitop3_b32 v3, v134, v135, 48 bitop3:0x6c
	v_or_b32_e32 v127, v2, v3
	v_bitop3_b32 v128, v2, 32, v3 bitop3:0x36
	.loc	1 219 12                        ; fused_moe_aot.py:219:12
	v_add_u32_e32 v76, 0, v127
	s_waitcnt lgkmcnt(0)
	s_barrier
	v_add_u32_e32 v77, 0, v128
	ds_read_b128 v[58:61], v76
	.loc	1 223 51 is_stmt 1              ; fused_moe_aot.py:223:51
	ds_read_b128 v[62:65], v77
	.loc	1 247 33                        ; fused_moe_aot.py:247:33
	s_lshl_b32 s10, s35, 6
	s_ashr_i32 s11, s10, 31
	.loc	1 223 51                        ; fused_moe_aot.py:223:51
	s_cmp_ge_u32 s62, s12
	.loc	1 223 20 is_stmt 0              ; fused_moe_aot.py:223:20
	s_cbranch_scc1 .LBB0_136
; %bb.120:
	.loc	1 247 18 is_stmt 1              ; fused_moe_aot.py:247:18
	v_lshl_add_u64 v[2:3], v[90:91], 0, s[10:11]
	.loc	1 223 20                        ; fused_moe_aot.py:223:20
	global_load_ubyte v84, v[2:3], off
	.loc	1 223 51 is_stmt 0              ; fused_moe_aot.py:223:51
	s_cmp_ge_u32 s63, s12
	.loc	1 223 20                        ; fused_moe_aot.py:223:20
	s_cbranch_scc0 .LBB0_137
.LBB0_121:
	.loc	1 0 20                          ; fused_moe_aot.py:0:20
	v_mov_b32_e32 v85, 0
	.loc	1 223 51                        ; fused_moe_aot.py:223:51
	s_cmp_ge_u32 s64, s12
	.loc	1 223 20                        ; fused_moe_aot.py:223:20
	s_cbranch_scc0 .LBB0_138
.LBB0_122:
	.loc	1 0 20                          ; fused_moe_aot.py:0:20
	v_mov_b32_e32 v86, 0
	.loc	1 223 51                        ; fused_moe_aot.py:223:51
	s_cmp_ge_u32 s65, s12
	.loc	1 223 20                        ; fused_moe_aot.py:223:20
	s_cbranch_scc0 .LBB0_139
.LBB0_123:
	.loc	1 0 20                          ; fused_moe_aot.py:0:20
	v_mov_b32_e32 v87, 0
	.loc	1 223 51                        ; fused_moe_aot.py:223:51
	s_cmp_ge_u32 s66, s12
	.loc	1 223 20                        ; fused_moe_aot.py:223:20
	s_cbranch_scc0 .LBB0_140
.LBB0_124:
	.loc	1 0 20                          ; fused_moe_aot.py:0:20
	v_mov_b32_e32 v88, 0
	.loc	1 223 51                        ; fused_moe_aot.py:223:51
	s_cmp_ge_u32 s67, s12
	.loc	1 223 20                        ; fused_moe_aot.py:223:20
	s_cbranch_scc0 .LBB0_141
.LBB0_125:
	.loc	1 0 20                          ; fused_moe_aot.py:0:20
	v_mov_b32_e32 v89, 0
	.loc	1 223 51                        ; fused_moe_aot.py:223:51
	s_cmp_ge_u32 s68, s12
	.loc	1 223 20                        ; fused_moe_aot.py:223:20
	s_cbranch_scc0 .LBB0_142
.LBB0_126:
	.loc	1 0 20                          ; fused_moe_aot.py:0:20
	v_mov_b32_e32 v90, 0
	.loc	1 223 51                        ; fused_moe_aot.py:223:51
	s_cmp_ge_u32 s69, s12
	.loc	1 223 20                        ; fused_moe_aot.py:223:20
	s_cbranch_scc0 .LBB0_143
.LBB0_127:
	.loc	1 0 20                          ; fused_moe_aot.py:0:20
	v_mov_b32_e32 v91, 0
	.loc	1 223 51                        ; fused_moe_aot.py:223:51
	s_cmp_ge_u32 s70, s12
	.loc	1 223 20                        ; fused_moe_aot.py:223:20
	s_cbranch_scc0 .LBB0_144
.LBB0_128:
	.loc	1 0 20                          ; fused_moe_aot.py:0:20
	v_mov_b32_e32 v92, 0
	.loc	1 223 51                        ; fused_moe_aot.py:223:51
	s_cmp_ge_u32 s71, s12
	.loc	1 223 20                        ; fused_moe_aot.py:223:20
	s_cbranch_scc0 .LBB0_145
.LBB0_129:
	.loc	1 0 20                          ; fused_moe_aot.py:0:20
	v_mov_b32_e32 v93, 0
	.loc	1 223 51                        ; fused_moe_aot.py:223:51
	s_cmp_ge_u32 s72, s12
	.loc	1 223 20                        ; fused_moe_aot.py:223:20
	s_cbranch_scc0 .LBB0_146
.LBB0_130:
	.loc	1 0 20                          ; fused_moe_aot.py:0:20
	v_mov_b32_e32 v94, 0
	.loc	1 223 51                        ; fused_moe_aot.py:223:51
	s_cmp_ge_u32 s73, s12
	.loc	1 223 20                        ; fused_moe_aot.py:223:20
	s_cbranch_scc0 .LBB0_147
.LBB0_131:
	.loc	1 0 20                          ; fused_moe_aot.py:0:20
	v_mov_b32_e32 v95, 0
	.loc	1 223 51                        ; fused_moe_aot.py:223:51
	s_cmp_ge_u32 s74, s12
	.loc	1 223 20                        ; fused_moe_aot.py:223:20
	s_cbranch_scc0 .LBB0_148
.LBB0_132:
	.loc	1 0 20                          ; fused_moe_aot.py:0:20
	v_mov_b32_e32 v96, 0
	.loc	1 223 51                        ; fused_moe_aot.py:223:51
	s_cmp_ge_u32 s75, s12
	.loc	1 223 20                        ; fused_moe_aot.py:223:20
	s_cbranch_scc0 .LBB0_149
.LBB0_133:
	.loc	1 0 20                          ; fused_moe_aot.py:0:20
	v_mov_b32_e32 v98, 0
	.loc	1 223 51                        ; fused_moe_aot.py:223:51
	s_cmp_ge_u32 s76, s12
	.loc	1 223 20                        ; fused_moe_aot.py:223:20
	s_cbranch_scc0 .LBB0_150
.LBB0_134:
	.loc	1 0 20                          ; fused_moe_aot.py:0:20
	v_mov_b32_e32 v99, 0
	.loc	1 223 51                        ; fused_moe_aot.py:223:51
	s_cmp_ge_u32 s77, s12
	.loc	1 223 20                        ; fused_moe_aot.py:223:20
	s_cbranch_scc0 .LBB0_151
.LBB0_135:
	.loc	1 0 20                          ; fused_moe_aot.py:0:20
	v_mov_b32_e32 v97, 0
	.loc	1 223 20                        ; fused_moe_aot.py:223:20
	s_branch .LBB0_152
.LBB0_136:
	.loc	1 0 20                          ; fused_moe_aot.py:0:20
	v_mov_b32_e32 v84, 0
	.loc	1 223 51                        ; fused_moe_aot.py:223:51
	s_cmp_ge_u32 s63, s12
	.loc	1 223 20                        ; fused_moe_aot.py:223:20
	s_cbranch_scc1 .LBB0_121
.LBB0_137:
	.loc	1 247 18 is_stmt 1              ; fused_moe_aot.py:247:18
	v_lshl_add_u64 v[2:3], v[92:93], 0, s[10:11]
	.loc	1 223 20                        ; fused_moe_aot.py:223:20
	global_load_ubyte v85, v[2:3], off
	.loc	1 223 51 is_stmt 0              ; fused_moe_aot.py:223:51
	s_cmp_ge_u32 s64, s12
	.loc	1 223 20                        ; fused_moe_aot.py:223:20
	s_cbranch_scc1 .LBB0_122
.LBB0_138:
	.loc	1 247 18 is_stmt 1              ; fused_moe_aot.py:247:18
	v_lshl_add_u64 v[2:3], v[94:95], 0, s[10:11]
	.loc	1 223 20                        ; fused_moe_aot.py:223:20
	global_load_ubyte v86, v[2:3], off
	.loc	1 223 51 is_stmt 0              ; fused_moe_aot.py:223:51
	s_cmp_ge_u32 s65, s12
	.loc	1 223 20                        ; fused_moe_aot.py:223:20
	s_cbranch_scc1 .LBB0_123
.LBB0_139:
	.loc	1 247 18 is_stmt 1              ; fused_moe_aot.py:247:18
	v_lshl_add_u64 v[2:3], v[96:97], 0, s[10:11]
	.loc	1 223 20                        ; fused_moe_aot.py:223:20
	global_load_ubyte v87, v[2:3], off
	.loc	1 223 51 is_stmt 0              ; fused_moe_aot.py:223:51
	s_cmp_ge_u32 s66, s12
	.loc	1 223 20                        ; fused_moe_aot.py:223:20
	s_cbranch_scc1 .LBB0_124
.LBB0_140:
	.loc	1 247 18 is_stmt 1              ; fused_moe_aot.py:247:18
	v_lshl_add_u64 v[2:3], v[98:99], 0, s[10:11]
	.loc	1 223 20                        ; fused_moe_aot.py:223:20
	global_load_ubyte v88, v[2:3], off
	.loc	1 223 51 is_stmt 0              ; fused_moe_aot.py:223:51
	s_cmp_ge_u32 s67, s12
	.loc	1 223 20                        ; fused_moe_aot.py:223:20
	s_cbranch_scc1 .LBB0_125
.LBB0_141:
	.loc	1 247 18 is_stmt 1              ; fused_moe_aot.py:247:18
	v_lshl_add_u64 v[2:3], v[100:101], 0, s[10:11]
	.loc	1 223 20                        ; fused_moe_aot.py:223:20
	global_load_ubyte v89, v[2:3], off
	.loc	1 223 51 is_stmt 0              ; fused_moe_aot.py:223:51
	s_cmp_ge_u32 s68, s12
	.loc	1 223 20                        ; fused_moe_aot.py:223:20
	s_cbranch_scc1 .LBB0_126
.LBB0_142:
	.loc	1 247 18 is_stmt 1              ; fused_moe_aot.py:247:18
	v_lshl_add_u64 v[2:3], v[102:103], 0, s[10:11]
	.loc	1 223 20                        ; fused_moe_aot.py:223:20
	global_load_ubyte v90, v[2:3], off
	.loc	1 223 51 is_stmt 0              ; fused_moe_aot.py:223:51
	s_cmp_ge_u32 s69, s12
	.loc	1 223 20                        ; fused_moe_aot.py:223:20
	s_cbranch_scc1 .LBB0_127
.LBB0_143:
	.loc	1 247 18 is_stmt 1              ; fused_moe_aot.py:247:18
	v_lshl_add_u64 v[2:3], v[104:105], 0, s[10:11]
	.loc	1 223 20                        ; fused_moe_aot.py:223:20
	global_load_ubyte v91, v[2:3], off
	.loc	1 223 51 is_stmt 0              ; fused_moe_aot.py:223:51
	s_cmp_ge_u32 s70, s12
	.loc	1 223 20                        ; fused_moe_aot.py:223:20
	s_cbranch_scc1 .LBB0_128
.LBB0_144:
	.loc	1 247 18 is_stmt 1              ; fused_moe_aot.py:247:18
	v_lshl_add_u64 v[2:3], v[106:107], 0, s[10:11]
	.loc	1 223 20                        ; fused_moe_aot.py:223:20
	global_load_ubyte v92, v[2:3], off
	.loc	1 223 51 is_stmt 0              ; fused_moe_aot.py:223:51
	s_cmp_ge_u32 s71, s12
	.loc	1 223 20                        ; fused_moe_aot.py:223:20
	s_cbranch_scc1 .LBB0_129
.LBB0_145:
	.loc	1 247 18 is_stmt 1              ; fused_moe_aot.py:247:18
	v_lshl_add_u64 v[2:3], v[108:109], 0, s[10:11]
	.loc	1 223 20                        ; fused_moe_aot.py:223:20
	global_load_ubyte v93, v[2:3], off
	.loc	1 223 51 is_stmt 0              ; fused_moe_aot.py:223:51
	s_cmp_ge_u32 s72, s12
	.loc	1 223 20                        ; fused_moe_aot.py:223:20
	s_cbranch_scc1 .LBB0_130
.LBB0_146:
	.loc	1 247 18 is_stmt 1              ; fused_moe_aot.py:247:18
	v_lshl_add_u64 v[2:3], v[110:111], 0, s[10:11]
	.loc	1 223 20                        ; fused_moe_aot.py:223:20
	global_load_ubyte v94, v[2:3], off
	.loc	1 223 51 is_stmt 0              ; fused_moe_aot.py:223:51
	s_cmp_ge_u32 s73, s12
	.loc	1 223 20                        ; fused_moe_aot.py:223:20
	s_cbranch_scc1 .LBB0_131
.LBB0_147:
	.loc	1 247 18 is_stmt 1              ; fused_moe_aot.py:247:18
	v_lshl_add_u64 v[2:3], v[112:113], 0, s[10:11]
	.loc	1 223 20                        ; fused_moe_aot.py:223:20
	global_load_ubyte v95, v[2:3], off
	.loc	1 223 51 is_stmt 0              ; fused_moe_aot.py:223:51
	s_cmp_ge_u32 s74, s12
	.loc	1 223 20                        ; fused_moe_aot.py:223:20
	s_cbranch_scc1 .LBB0_132
.LBB0_148:
	.loc	1 247 18 is_stmt 1              ; fused_moe_aot.py:247:18
	v_lshl_add_u64 v[2:3], v[114:115], 0, s[10:11]
	.loc	1 223 20                        ; fused_moe_aot.py:223:20
	global_load_ubyte v96, v[2:3], off
	.loc	1 223 51 is_stmt 0              ; fused_moe_aot.py:223:51
	s_cmp_ge_u32 s75, s12
	.loc	1 223 20                        ; fused_moe_aot.py:223:20
	s_cbranch_scc1 .LBB0_133
.LBB0_149:
	.loc	1 247 18 is_stmt 1              ; fused_moe_aot.py:247:18
	v_lshl_add_u64 v[2:3], v[116:117], 0, s[10:11]
	.loc	1 223 20                        ; fused_moe_aot.py:223:20
	global_load_ubyte v98, v[2:3], off
	.loc	1 223 51 is_stmt 0              ; fused_moe_aot.py:223:51
	s_cmp_ge_u32 s76, s12
	.loc	1 223 20                        ; fused_moe_aot.py:223:20
	s_cbranch_scc1 .LBB0_134
.LBB0_150:
	.loc	1 247 18 is_stmt 1              ; fused_moe_aot.py:247:18
	v_lshl_add_u64 v[2:3], v[118:119], 0, s[10:11]
	.loc	1 223 20                        ; fused_moe_aot.py:223:20
	global_load_ubyte v99, v[2:3], off
	.loc	1 223 51 is_stmt 0              ; fused_moe_aot.py:223:51
	s_cmp_ge_u32 s77, s12
	.loc	1 223 20                        ; fused_moe_aot.py:223:20
	s_cbranch_scc1 .LBB0_135
.LBB0_151:
	.loc	1 247 18 is_stmt 1              ; fused_moe_aot.py:247:18
	v_lshl_add_u64 v[2:3], v[120:121], 0, s[10:11]
	.loc	1 223 20                        ; fused_moe_aot.py:223:20
	global_load_ubyte v97, v[2:3], off
.LBB0_152:
	.loc	1 0 20 is_stmt 0                ; fused_moe_aot.py:0:20
	v_bfe_i32 v0, v0, 3, 1
	v_and_b32_e32 v130, 0x4c0, v1
	v_and_b32_e32 v0, 0x110, v0
	v_and_b32_e32 v131, 8, v132
	v_bitop3_b32 v0, v0, v19, v130 bitop3:0x36
	v_or_b32_e32 v0, v0, v131
	v_readlane_b32 s12, v163, 30
	v_mov_b32_e32 v56, 0
	s_nop 0
	v_or_b32_e32 v1, s12, v0
	.loc	1 223 20                        ; fused_moe_aot.py:223:20
	v_add_u32_e32 v78, 0, v1
	v_bitop3_b32 v0, v0, 32, s12 bitop3:0x36
	v_add_u32_e32 v79, 0, v0
	ds_read_b64_tr_b8 v[66:67], v78 offset:4096
	ds_read_b64_tr_b8 v[70:71], v78 offset:6144
	;; [unrolled: 1-line block ×4, first 2 shown]
	.loc	1 232 20 is_stmt 1              ; fused_moe_aot.py:232:20
	s_and_saveexec_b64 s[12:13], s[8:9]
	s_cbranch_execz .LBB0_154
; %bb.153:
	global_load_dword v56, v[54:55], off
.LBB0_154:
	.loc	1 0 20 is_stmt 0                ; fused_moe_aot.py:0:20
	s_or_b64 exec, exec, s[12:13]
	.loc	1 234 34 is_stmt 1              ; fused_moe_aot.py:234:34
	global_load_dword v100, v[52:53], off
	global_load_dword v101, v[50:51], off
	global_load_dword v102, v[48:49], off
	global_load_dword v103, v[46:47], off
	global_load_dword v104, v[44:45], off
	global_load_dword v105, v[42:43], off
	global_load_dword v106, v[40:41], off
	global_load_dword v107, v[38:39], off
	global_load_dword v108, v[36:37], off
	global_load_dword v109, v[34:35], off
	global_load_dword v110, v[32:33], off
	global_load_dword v111, v[30:31], off
	global_load_dword v112, v[28:29], off
	global_load_dword v113, v[26:27], off
	global_load_dword v114, v[24:25], off
	global_load_dword v115, v[22:23], off
	.loc	1 236 41                        ; fused_moe_aot.py:236:41
	s_waitcnt lgkmcnt(0)
	v_mfma_f32_32x32x64_f8f6f4 v[0:15], v[66:73], v[58:65], 0
.Ltmp12:
	.loc	2 43 30                         ; standard.py:43:30 @[ fused_moe_aot.py:215:33 ]
	s_ashr_i32 s12, s61, 31
	s_lshr_b32 s12, s12, 26
	s_add_i32 s61, s61, s12
.Ltmp13:
	.loc	1 234 34                        ; fused_moe_aot.py:234:34
	s_waitcnt vmcnt(16)
	v_mov_b32_e32 v57, v56
.Ltmp14:
	.loc	2 43 30                         ; standard.py:43:30 @[ fused_moe_aot.py:215:33 ]
	s_ashr_i32 s12, s61, 6
.Ltmp15:
	.loc	1 215 22                        ; fused_moe_aot.py:215:22
	s_max_i32 s61, s12, 2
	s_cmp_eq_u32 s61, 2
	.loc	1 219 12                        ; fused_moe_aot.py:219:12
	s_waitcnt lgkmcnt(0)
	s_barrier
	ds_write_b8 v123, v137
	ds_write_b8 v123, v141 offset:1024
	ds_write_b8 v123, v145 offset:2048
	;; [unrolled: 1-line block ×15, first 2 shown]
	.loc	1 223 20                        ; fused_moe_aot.py:223:20
	ds_write_b8 v123, v84 offset:4096
	ds_write_b8 v123, v88 offset:5120
	;; [unrolled: 1-line block ×16, first 2 shown]
	.loc	1 236 46                        ; fused_moe_aot.py:236:46
	v_pk_mul_f32 v[0:1], v[56:57], v[0:1]
	v_pk_mul_f32 v[2:3], v[56:57], v[2:3]
	v_pk_mul_f32 v[4:5], v[56:57], v[4:5]
	v_pk_mul_f32 v[6:7], v[56:57], v[6:7]
	v_pk_mul_f32 v[8:9], v[56:57], v[8:9]
	v_pk_mul_f32 v[10:11], v[56:57], v[10:11]
	v_pk_mul_f32 v[12:13], v[56:57], v[12:13]
	v_pk_mul_f32 v[14:15], v[56:57], v[14:15]
	.loc	1 236 31 is_stmt 0              ; fused_moe_aot.py:236:31
	s_waitcnt vmcnt(14)
	v_pk_fma_f32 v[70:71], v[100:101], v[0:1], 0 op_sel_hi:[1,1,0]
	s_waitcnt vmcnt(12)
	v_pk_fma_f32 v[68:69], v[102:103], v[2:3], 0 op_sel_hi:[1,1,0]
	;; [unrolled: 2-line block ×8, first 2 shown]
	.loc	1 215 22 is_stmt 1              ; fused_moe_aot.py:215:22
	s_cbranch_scc1 .LBB0_225
; %bb.155:                              ; %.peel.next
	.loc	1 0 22 is_stmt 0                ; fused_moe_aot.py:0:22
	v_mad_i64_i32 v[0:1], s[12:13], v129, s53, 0
	.loc	1 215 22                        ; fused_moe_aot.py:215:22
	s_lshl_b64 s[12:13], s[10:11], 1
	s_add_u32 s4, s4, s12
	v_writelane_b32 v163, s85, 37
	s_addc_u32 s5, s5, s13
	v_writelane_b32 v163, s84, 35
	s_add_u32 s4, s4, s34
	v_writelane_b32 v163, s81, 33
	s_addc_u32 s5, s5, s58
	s_lshl_b64 s[80:81], s[0:1], 1
	v_lshl_add_u64 v[72:73], s[4:5], 0, v[0:1]
	s_add_u32 s4, s30, s80
	s_addc_u32 s5, s52, s81
	s_add_u32 s4, s2, s4
	s_addc_u32 s5, s3, s5
	;; [unrolled: 2-line block ×6, first 2 shown]
	v_readlane_b32 s34, v162, 4
	s_add_u32 s34, s34, s80
	v_readlane_b32 s35, v162, 5
	s_addc_u32 s35, s35, s81
	s_add_u32 s34, s2, s34
	s_addc_u32 s35, s3, s35
	v_readlane_b32 s36, v162, 2
	s_add_u32 s36, s36, s80
	v_readlane_b32 s37, v162, 3
	s_addc_u32 s37, s37, s81
	s_add_u32 s36, s2, s36
	s_addc_u32 s37, s3, s37
	;; [unrolled: 6-line block ×13, first 2 shown]
	s_lshl_b32 s79, s61, 6
	s_add_i32 s80, s60, 0xffffff80
	s_movk_i32 s60, 0x80
	s_branch .LBB0_157
.LBB0_156:                              ;   in Loop: Header=BB0_157 Depth=1
	.loc	1 0 22                          ; fused_moe_aot.py:0:22
	s_or_b64 exec, exec, vcc
	.loc	1 234 59 is_stmt 1              ; fused_moe_aot.py:234:59
	s_mul_i32 s60, s60, s78
	.loc	1 234 49 is_stmt 0              ; fused_moe_aot.py:234:49
	s_ashr_i32 s61, s60, 31
	s_lshl_b64 s[60:61], s[60:61], 2
	v_lshl_add_u64 v[0:1], v[52:53], 0, s[60:61]
	v_lshl_add_u64 v[138:139], v[36:37], 0, s[60:61]
	;; [unrolled: 1-line block ×16, first 2 shown]
	.loc	1 234 34                        ; fused_moe_aot.py:234:34
	global_load_dword v154, v[0:1], off
	global_load_dword v155, v[2:3], off
	;; [unrolled: 1-line block ×8, first 2 shown]
	s_nop 0
	global_load_dword v138, v[138:139], off
	s_nop 0
	global_load_dword v139, v[140:141], off
	;; [unrolled: 2-line block ×3, first 2 shown]
	global_load_dword v141, v[144:145], off
	s_nop 0
	global_load_dword v142, v[146:147], off
	global_load_dword v143, v[148:149], off
	;; [unrolled: 1-line block ×4, first 2 shown]
	.loc	1 215 22 is_stmt 1              ; fused_moe_aot.py:215:22
	s_add_i32 s60, s81, 64
	s_add_u32 s4, s4, s0
	s_addc_u32 s5, s5, s1
	s_add_u32 s12, s12, s0
	s_addc_u32 s13, s13, s1
	;; [unrolled: 2-line block ×7, first 2 shown]
	s_add_u32 s42, s42, s0
	.loc	1 236 41                        ; fused_moe_aot.py:236:41
	s_waitcnt lgkmcnt(0)
	v_mfma_f32_32x32x64_f8f6f4 v[0:15], v[88:95], v[80:87], 0
	.loc	1 215 22                        ; fused_moe_aot.py:215:22
	s_addc_u32 s43, s43, s1
	s_add_u32 s44, s44, s0
	s_addc_u32 s45, s45, s1
	s_add_u32 s46, s46, s0
	;; [unrolled: 2-line block ×7, first 2 shown]
	s_addc_u32 s59, s59, s1
	.loc	1 234 59                        ; fused_moe_aot.py:234:59
	s_waitcnt vmcnt(16)
	v_mov_b32_e32 v75, v74
	.loc	1 215 22                        ; fused_moe_aot.py:215:22
	s_add_u32 s2, s2, s0
	.loc	1 236 46                        ; fused_moe_aot.py:236:46
	s_nop 1
	v_pk_mul_f32 v[0:1], v[74:75], v[0:1]
	v_pk_mul_f32 v[2:3], v[74:75], v[2:3]
	;; [unrolled: 1-line block ×8, first 2 shown]
	.loc	1 215 22                        ; fused_moe_aot.py:215:22
	s_addc_u32 s3, s3, s1
	s_sub_i32 s80, s80, 64
	s_cmp_lg_u32 s79, s60
	v_lshl_add_u64 v[72:73], v[72:73], 0, s[10:11]
	.loc	1 219 12                        ; fused_moe_aot.py:219:12
	s_waitcnt lgkmcnt(0)
	s_barrier
	ds_write_b8 v123, v96
	ds_write_b8 v123, v100 offset:1024
	ds_write_b8 v123, v104 offset:2048
	;; [unrolled: 1-line block ×15, first 2 shown]
	.loc	1 223 20                        ; fused_moe_aot.py:223:20
	ds_write_b8 v123, v112 offset:4096
	ds_write_b8 v123, v116 offset:5120
	;; [unrolled: 1-line block ×16, first 2 shown]
	.loc	1 236 31                        ; fused_moe_aot.py:236:31
	s_waitcnt vmcnt(14)
	v_pk_fma_f32 v[70:71], v[154:155], v[0:1], v[70:71]
	s_waitcnt vmcnt(12)
	v_pk_fma_f32 v[68:69], v[156:157], v[2:3], v[68:69]
	;; [unrolled: 2-line block ×8, first 2 shown]
	.loc	1 215 22                        ; fused_moe_aot.py:215:22
	s_cbranch_scc0 .LBB0_224
.LBB0_157:                              ; =>This Inner Loop Header: Depth=1
	.loc	1 220 58                        ; fused_moe_aot.py:220:58
	v_cmp_gt_i32_e32 vcc, s80, v16
	s_mov_b32 s81, s60
	.loc	1 220 40 is_stmt 0              ; fused_moe_aot.py:220:40
	s_and_b64 s[84:85], s[86:87], vcc
	v_mov_b32_e32 v96, 0
	.loc	1 219 12 is_stmt 1              ; fused_moe_aot.py:219:12
	s_and_saveexec_b64 s[60:61], s[84:85]
	s_cbranch_execz .LBB0_159
; %bb.158:                              ;   in Loop: Header=BB0_157 Depth=1
	.loc	1 246 18                        ; fused_moe_aot.py:246:18
	v_lshl_add_u64 v[0:1], s[2:3], 0, v[20:21]
	.loc	1 219 12                        ; fused_moe_aot.py:219:12
	global_load_ubyte v96, v[0:1], off
.LBB0_159:                              ;   in Loop: Header=BB0_157 Depth=1
	.loc	1 0 12 is_stmt 0                ; fused_moe_aot.py:0:12
	s_or_b64 exec, exec, s[60:61]
	.loc	1 220 40 is_stmt 1              ; fused_moe_aot.py:220:40
	v_readlane_b32 s60, v163, 0
	v_readlane_b32 s61, v163, 1
	s_and_b64 s[84:85], s[60:61], vcc
	v_mov_b32_e32 v97, 0
	v_mov_b32_e32 v98, 0
	.loc	1 219 12                        ; fused_moe_aot.py:219:12
	s_and_saveexec_b64 s[60:61], s[84:85]
	s_cbranch_execz .LBB0_161
; %bb.160:                              ;   in Loop: Header=BB0_157 Depth=1
	.loc	1 246 18                        ; fused_moe_aot.py:246:18
	v_lshl_add_u64 v[0:1], s[58:59], 0, v[20:21]
	.loc	1 219 12                        ; fused_moe_aot.py:219:12
	global_load_ubyte v98, v[0:1], off
.LBB0_161:                              ;   in Loop: Header=BB0_157 Depth=1
	.loc	1 0 12 is_stmt 0                ; fused_moe_aot.py:0:12
	s_or_b64 exec, exec, s[60:61]
	.loc	1 220 40 is_stmt 1              ; fused_moe_aot.py:220:40
	v_readlane_b32 s60, v163, 2
	v_readlane_b32 s61, v163, 3
	s_and_b64 s[84:85], s[60:61], vcc
	.loc	1 219 12                        ; fused_moe_aot.py:219:12
	s_and_saveexec_b64 s[60:61], s[84:85]
	s_cbranch_execz .LBB0_163
; %bb.162:                              ;   in Loop: Header=BB0_157 Depth=1
	.loc	1 246 18                        ; fused_moe_aot.py:246:18
	v_lshl_add_u64 v[0:1], s[56:57], 0, v[20:21]
	.loc	1 219 12                        ; fused_moe_aot.py:219:12
	global_load_ubyte v97, v[0:1], off
.LBB0_163:                              ;   in Loop: Header=BB0_157 Depth=1
	.loc	1 0 12 is_stmt 0                ; fused_moe_aot.py:0:12
	s_or_b64 exec, exec, s[60:61]
	.loc	1 220 40 is_stmt 1              ; fused_moe_aot.py:220:40
	v_readlane_b32 s60, v163, 4
	v_readlane_b32 s61, v163, 5
	s_and_b64 s[84:85], s[60:61], vcc
	v_mov_b32_e32 v100, 0
	v_mov_b32_e32 v99, 0
	.loc	1 219 12                        ; fused_moe_aot.py:219:12
	s_and_saveexec_b64 s[60:61], s[84:85]
	s_cbranch_execz .LBB0_165
; %bb.164:                              ;   in Loop: Header=BB0_157 Depth=1
	.loc	1 246 18                        ; fused_moe_aot.py:246:18
	v_lshl_add_u64 v[0:1], s[54:55], 0, v[20:21]
	.loc	1 219 12                        ; fused_moe_aot.py:219:12
	global_load_ubyte v99, v[0:1], off
.LBB0_165:                              ;   in Loop: Header=BB0_157 Depth=1
	.loc	1 0 12 is_stmt 0                ; fused_moe_aot.py:0:12
	s_or_b64 exec, exec, s[60:61]
	.loc	1 220 40 is_stmt 1              ; fused_moe_aot.py:220:40
	v_readlane_b32 s60, v163, 6
	v_readlane_b32 s61, v163, 7
	s_and_b64 s[84:85], s[60:61], vcc
	.loc	1 219 12                        ; fused_moe_aot.py:219:12
	;; [unrolled: 32-line block ×7, first 2 shown]
	s_and_saveexec_b64 s[60:61], s[84:85]
	s_cbranch_execz .LBB0_187
; %bb.186:                              ;   in Loop: Header=BB0_157 Depth=1
	.loc	1 246 18                        ; fused_moe_aot.py:246:18
	v_lshl_add_u64 v[0:1], s[12:13], 0, v[20:21]
	.loc	1 219 12                        ; fused_moe_aot.py:219:12
	global_load_ubyte v109, v[0:1], off
.LBB0_187:                              ;   in Loop: Header=BB0_157 Depth=1
	.loc	1 0 12 is_stmt 0                ; fused_moe_aot.py:0:12
	s_or_b64 exec, exec, s[60:61]
	.loc	1 220 40 is_stmt 1              ; fused_moe_aot.py:220:40
	v_readlane_b32 s60, v163, 28
	v_readlane_b32 s61, v163, 29
	s_and_b64 s[84:85], s[60:61], vcc
	v_mov_b32_e32 v111, 0
	.loc	1 219 12                        ; fused_moe_aot.py:219:12
	s_and_saveexec_b64 s[60:61], s[84:85]
	s_cbranch_execz .LBB0_189
; %bb.188:                              ;   in Loop: Header=BB0_157 Depth=1
	.loc	1 247 18                        ; fused_moe_aot.py:247:18
	v_lshl_add_u64 v[0:1], s[4:5], 0, v[20:21]
	.loc	1 219 12                        ; fused_moe_aot.py:219:12
	global_load_ubyte v111, v[0:1], off
.LBB0_189:                              ;   in Loop: Header=BB0_157 Depth=1
	.loc	1 0 12 is_stmt 0                ; fused_moe_aot.py:0:12
	s_or_b64 exec, exec, s[60:61]
	.loc	1 219 12                        ; fused_moe_aot.py:219:12
	s_waitcnt lgkmcnt(0)
	s_barrier
	ds_read_b128 v[80:83], v76
	.loc	1 223 51 is_stmt 1              ; fused_moe_aot.py:223:51
	ds_read_b128 v[84:87], v77
	s_cmp_ge_i32 s62, s80
	.loc	1 223 20 is_stmt 0              ; fused_moe_aot.py:223:20
	s_cbranch_scc1 .LBB0_206
; %bb.190:                              ;   in Loop: Header=BB0_157 Depth=1
	.loc	1 247 18 is_stmt 1              ; fused_moe_aot.py:247:18
	v_lshl_add_u64 v[0:1], v[72:73], 0, s[82:83]
	.loc	1 223 20                        ; fused_moe_aot.py:223:20
	global_load_ubyte v112, v[0:1], off
	.loc	1 223 51 is_stmt 0              ; fused_moe_aot.py:223:51
	s_cmp_ge_i32 s63, s80
	.loc	1 223 20                        ; fused_moe_aot.py:223:20
	s_cbranch_scc0 .LBB0_207
.LBB0_191:                              ;   in Loop: Header=BB0_157 Depth=1
	.loc	1 0 20                          ; fused_moe_aot.py:0:20
	v_mov_b32_e32 v113, 0
	.loc	1 223 51                        ; fused_moe_aot.py:223:51
	s_cmp_ge_i32 s64, s80
	.loc	1 223 20                        ; fused_moe_aot.py:223:20
	s_cbranch_scc0 .LBB0_208
.LBB0_192:                              ;   in Loop: Header=BB0_157 Depth=1
	.loc	1 0 20                          ; fused_moe_aot.py:0:20
	v_mov_b32_e32 v114, 0
	.loc	1 223 51                        ; fused_moe_aot.py:223:51
	s_cmp_ge_i32 s65, s80
	.loc	1 223 20                        ; fused_moe_aot.py:223:20
	s_cbranch_scc0 .LBB0_209
.LBB0_193:                              ;   in Loop: Header=BB0_157 Depth=1
	.loc	1 0 20                          ; fused_moe_aot.py:0:20
	v_mov_b32_e32 v115, 0
	.loc	1 223 51                        ; fused_moe_aot.py:223:51
	s_cmp_ge_i32 s66, s80
	.loc	1 223 20                        ; fused_moe_aot.py:223:20
	s_cbranch_scc0 .LBB0_210
.LBB0_194:                              ;   in Loop: Header=BB0_157 Depth=1
	.loc	1 0 20                          ; fused_moe_aot.py:0:20
	v_mov_b32_e32 v116, 0
	.loc	1 223 51                        ; fused_moe_aot.py:223:51
	s_cmp_ge_i32 s67, s80
	.loc	1 223 20                        ; fused_moe_aot.py:223:20
	s_cbranch_scc0 .LBB0_211
.LBB0_195:                              ;   in Loop: Header=BB0_157 Depth=1
	.loc	1 0 20                          ; fused_moe_aot.py:0:20
	v_mov_b32_e32 v117, 0
	.loc	1 223 51                        ; fused_moe_aot.py:223:51
	s_cmp_ge_i32 s68, s80
	.loc	1 223 20                        ; fused_moe_aot.py:223:20
	s_cbranch_scc0 .LBB0_212
.LBB0_196:                              ;   in Loop: Header=BB0_157 Depth=1
	.loc	1 0 20                          ; fused_moe_aot.py:0:20
	v_mov_b32_e32 v118, 0
	.loc	1 223 51                        ; fused_moe_aot.py:223:51
	s_cmp_ge_i32 s69, s80
	.loc	1 223 20                        ; fused_moe_aot.py:223:20
	s_cbranch_scc0 .LBB0_213
.LBB0_197:                              ;   in Loop: Header=BB0_157 Depth=1
	.loc	1 0 20                          ; fused_moe_aot.py:0:20
	v_mov_b32_e32 v119, 0
	.loc	1 223 51                        ; fused_moe_aot.py:223:51
	s_cmp_ge_i32 s70, s80
	.loc	1 223 20                        ; fused_moe_aot.py:223:20
	s_cbranch_scc0 .LBB0_214
.LBB0_198:                              ;   in Loop: Header=BB0_157 Depth=1
	.loc	1 0 20                          ; fused_moe_aot.py:0:20
	v_mov_b32_e32 v120, 0
	.loc	1 223 51                        ; fused_moe_aot.py:223:51
	s_cmp_ge_i32 s71, s80
	.loc	1 223 20                        ; fused_moe_aot.py:223:20
	s_cbranch_scc0 .LBB0_215
.LBB0_199:                              ;   in Loop: Header=BB0_157 Depth=1
	.loc	1 0 20                          ; fused_moe_aot.py:0:20
	v_mov_b32_e32 v121, 0
	.loc	1 223 51                        ; fused_moe_aot.py:223:51
	s_cmp_ge_i32 s72, s80
	.loc	1 223 20                        ; fused_moe_aot.py:223:20
	s_cbranch_scc0 .LBB0_216
.LBB0_200:                              ;   in Loop: Header=BB0_157 Depth=1
	.loc	1 0 20                          ; fused_moe_aot.py:0:20
	v_mov_b32_e32 v132, 0
	.loc	1 223 51                        ; fused_moe_aot.py:223:51
	s_cmp_ge_i32 s73, s80
	.loc	1 223 20                        ; fused_moe_aot.py:223:20
	s_cbranch_scc0 .LBB0_217
.LBB0_201:                              ;   in Loop: Header=BB0_157 Depth=1
	.loc	1 0 20                          ; fused_moe_aot.py:0:20
	v_mov_b32_e32 v129, 0
	.loc	1 223 51                        ; fused_moe_aot.py:223:51
	s_cmp_ge_i32 s74, s80
	.loc	1 223 20                        ; fused_moe_aot.py:223:20
	s_cbranch_scc0 .LBB0_218
.LBB0_202:                              ;   in Loop: Header=BB0_157 Depth=1
	.loc	1 0 20                          ; fused_moe_aot.py:0:20
	v_mov_b32_e32 v133, 0
	.loc	1 223 51                        ; fused_moe_aot.py:223:51
	s_cmp_ge_i32 s75, s80
	.loc	1 223 20                        ; fused_moe_aot.py:223:20
	s_cbranch_scc0 .LBB0_219
.LBB0_203:                              ;   in Loop: Header=BB0_157 Depth=1
	.loc	1 0 20                          ; fused_moe_aot.py:0:20
	v_mov_b32_e32 v134, 0
	.loc	1 223 51                        ; fused_moe_aot.py:223:51
	s_cmp_ge_i32 s76, s80
	.loc	1 223 20                        ; fused_moe_aot.py:223:20
	s_cbranch_scc0 .LBB0_220
.LBB0_204:                              ;   in Loop: Header=BB0_157 Depth=1
	.loc	1 0 20                          ; fused_moe_aot.py:0:20
	v_mov_b32_e32 v136, 0
	.loc	1 223 51                        ; fused_moe_aot.py:223:51
	s_cmp_ge_i32 s77, s80
	.loc	1 223 20                        ; fused_moe_aot.py:223:20
	s_cbranch_scc0 .LBB0_221
.LBB0_205:                              ;   in Loop: Header=BB0_157 Depth=1
	.loc	1 0 20                          ; fused_moe_aot.py:0:20
	v_mov_b32_e32 v135, 0
	.loc	1 223 20                        ; fused_moe_aot.py:223:20
	s_branch .LBB0_222
.LBB0_206:                              ;   in Loop: Header=BB0_157 Depth=1
	.loc	1 0 20                          ; fused_moe_aot.py:0:20
	v_mov_b32_e32 v112, 0
	.loc	1 223 51                        ; fused_moe_aot.py:223:51
	s_cmp_ge_i32 s63, s80
	.loc	1 223 20                        ; fused_moe_aot.py:223:20
	s_cbranch_scc1 .LBB0_191
.LBB0_207:                              ;   in Loop: Header=BB0_157 Depth=1
	.loc	1 247 18 is_stmt 1              ; fused_moe_aot.py:247:18
	v_readlane_b32 s60, v162, 7
	v_readlane_b32 s61, v162, 8
	s_nop 1
	v_lshl_add_u64 v[0:1], v[72:73], 0, s[60:61]
	.loc	1 223 20                        ; fused_moe_aot.py:223:20
	global_load_ubyte v113, v[0:1], off
	.loc	1 223 51 is_stmt 0              ; fused_moe_aot.py:223:51
	s_cmp_ge_i32 s64, s80
	.loc	1 223 20                        ; fused_moe_aot.py:223:20
	s_cbranch_scc1 .LBB0_192
.LBB0_208:                              ;   in Loop: Header=BB0_157 Depth=1
	.loc	1 247 18 is_stmt 1              ; fused_moe_aot.py:247:18
	v_readlane_b32 s60, v162, 10
	v_readlane_b32 s61, v162, 11
	s_nop 1
	v_lshl_add_u64 v[0:1], v[72:73], 0, s[60:61]
	.loc	1 223 20                        ; fused_moe_aot.py:223:20
	global_load_ubyte v114, v[0:1], off
	.loc	1 223 51 is_stmt 0              ; fused_moe_aot.py:223:51
	s_cmp_ge_i32 s65, s80
	.loc	1 223 20                        ; fused_moe_aot.py:223:20
	s_cbranch_scc1 .LBB0_193
.LBB0_209:                              ;   in Loop: Header=BB0_157 Depth=1
	.loc	1 247 18 is_stmt 1              ; fused_moe_aot.py:247:18
	v_lshl_add_u64 v[0:1], v[72:73], 0, s[88:89]
	.loc	1 223 20                        ; fused_moe_aot.py:223:20
	global_load_ubyte v115, v[0:1], off
	.loc	1 223 51 is_stmt 0              ; fused_moe_aot.py:223:51
	s_cmp_ge_i32 s66, s80
	.loc	1 223 20                        ; fused_moe_aot.py:223:20
	s_cbranch_scc1 .LBB0_194
.LBB0_210:                              ;   in Loop: Header=BB0_157 Depth=1
	.loc	1 247 18 is_stmt 1              ; fused_moe_aot.py:247:18
	v_lshl_add_u64 v[0:1], v[72:73], 0, s[90:91]
	.loc	1 223 20                        ; fused_moe_aot.py:223:20
	global_load_ubyte v116, v[0:1], off
	.loc	1 223 51 is_stmt 0              ; fused_moe_aot.py:223:51
	s_cmp_ge_i32 s67, s80
	.loc	1 223 20                        ; fused_moe_aot.py:223:20
	s_cbranch_scc1 .LBB0_195
.LBB0_211:                              ;   in Loop: Header=BB0_157 Depth=1
	.loc	1 247 18 is_stmt 1              ; fused_moe_aot.py:247:18
	v_lshl_add_u64 v[0:1], v[72:73], 0, s[92:93]
	.loc	1 223 20                        ; fused_moe_aot.py:223:20
	global_load_ubyte v117, v[0:1], off
	.loc	1 223 51 is_stmt 0              ; fused_moe_aot.py:223:51
	s_cmp_ge_i32 s68, s80
	.loc	1 223 20                        ; fused_moe_aot.py:223:20
	s_cbranch_scc1 .LBB0_196
.LBB0_212:                              ;   in Loop: Header=BB0_157 Depth=1
	.loc	1 247 18 is_stmt 1              ; fused_moe_aot.py:247:18
	v_lshl_add_u64 v[0:1], v[72:73], 0, s[94:95]
	.loc	1 223 20                        ; fused_moe_aot.py:223:20
	global_load_ubyte v118, v[0:1], off
	.loc	1 223 51 is_stmt 0              ; fused_moe_aot.py:223:51
	s_cmp_ge_i32 s69, s80
	.loc	1 223 20                        ; fused_moe_aot.py:223:20
	s_cbranch_scc1 .LBB0_197
.LBB0_213:                              ;   in Loop: Header=BB0_157 Depth=1
	.loc	1 247 18 is_stmt 1              ; fused_moe_aot.py:247:18
	v_lshl_add_u64 v[0:1], v[72:73], 0, s[96:97]
	.loc	1 223 20                        ; fused_moe_aot.py:223:20
	global_load_ubyte v119, v[0:1], off
	.loc	1 223 51 is_stmt 0              ; fused_moe_aot.py:223:51
	s_cmp_ge_i32 s70, s80
	.loc	1 223 20                        ; fused_moe_aot.py:223:20
	s_cbranch_scc1 .LBB0_198
.LBB0_214:                              ;   in Loop: Header=BB0_157 Depth=1
	.loc	1 247 18 is_stmt 1              ; fused_moe_aot.py:247:18
	v_lshl_add_u64 v[0:1], v[72:73], 0, s[98:99]
	.loc	1 223 20                        ; fused_moe_aot.py:223:20
	global_load_ubyte v120, v[0:1], off
	.loc	1 223 51 is_stmt 0              ; fused_moe_aot.py:223:51
	s_cmp_ge_i32 s71, s80
	.loc	1 223 20                        ; fused_moe_aot.py:223:20
	s_cbranch_scc1 .LBB0_199
.LBB0_215:                              ;   in Loop: Header=BB0_157 Depth=1
	.loc	1 247 18 is_stmt 1              ; fused_moe_aot.py:247:18
	v_lshl_add_u64 v[0:1], v[72:73], 0, s[16:17]
	.loc	1 223 20                        ; fused_moe_aot.py:223:20
	global_load_ubyte v121, v[0:1], off
	.loc	1 223 51 is_stmt 0              ; fused_moe_aot.py:223:51
	s_cmp_ge_i32 s72, s80
	.loc	1 223 20                        ; fused_moe_aot.py:223:20
	s_cbranch_scc1 .LBB0_200
.LBB0_216:                              ;   in Loop: Header=BB0_157 Depth=1
	.loc	1 247 18 is_stmt 1              ; fused_moe_aot.py:247:18
	v_lshl_add_u64 v[0:1], v[72:73], 0, s[18:19]
	.loc	1 223 20                        ; fused_moe_aot.py:223:20
	global_load_ubyte v132, v[0:1], off
	.loc	1 223 51 is_stmt 0              ; fused_moe_aot.py:223:51
	s_cmp_ge_i32 s73, s80
	.loc	1 223 20                        ; fused_moe_aot.py:223:20
	s_cbranch_scc1 .LBB0_201
.LBB0_217:                              ;   in Loop: Header=BB0_157 Depth=1
	.loc	1 247 18 is_stmt 1              ; fused_moe_aot.py:247:18
	v_lshl_add_u64 v[0:1], v[72:73], 0, s[20:21]
	.loc	1 223 20                        ; fused_moe_aot.py:223:20
	global_load_ubyte v129, v[0:1], off
	.loc	1 223 51 is_stmt 0              ; fused_moe_aot.py:223:51
	s_cmp_ge_i32 s74, s80
	.loc	1 223 20                        ; fused_moe_aot.py:223:20
	s_cbranch_scc1 .LBB0_202
.LBB0_218:                              ;   in Loop: Header=BB0_157 Depth=1
	.loc	1 247 18 is_stmt 1              ; fused_moe_aot.py:247:18
	v_lshl_add_u64 v[0:1], v[72:73], 0, s[22:23]
	.loc	1 223 20                        ; fused_moe_aot.py:223:20
	global_load_ubyte v133, v[0:1], off
	.loc	1 223 51 is_stmt 0              ; fused_moe_aot.py:223:51
	s_cmp_ge_i32 s75, s80
	.loc	1 223 20                        ; fused_moe_aot.py:223:20
	s_cbranch_scc1 .LBB0_203
.LBB0_219:                              ;   in Loop: Header=BB0_157 Depth=1
	.loc	1 247 18 is_stmt 1              ; fused_moe_aot.py:247:18
	v_lshl_add_u64 v[0:1], v[72:73], 0, s[24:25]
	.loc	1 223 20                        ; fused_moe_aot.py:223:20
	global_load_ubyte v134, v[0:1], off
	.loc	1 223 51 is_stmt 0              ; fused_moe_aot.py:223:51
	s_cmp_ge_i32 s76, s80
	.loc	1 223 20                        ; fused_moe_aot.py:223:20
	s_cbranch_scc1 .LBB0_204
.LBB0_220:                              ;   in Loop: Header=BB0_157 Depth=1
	.loc	1 247 18 is_stmt 1              ; fused_moe_aot.py:247:18
	v_lshl_add_u64 v[0:1], v[72:73], 0, s[26:27]
	.loc	1 223 20                        ; fused_moe_aot.py:223:20
	global_load_ubyte v136, v[0:1], off
	.loc	1 223 51 is_stmt 0              ; fused_moe_aot.py:223:51
	s_cmp_ge_i32 s77, s80
	.loc	1 223 20                        ; fused_moe_aot.py:223:20
	s_cbranch_scc1 .LBB0_205
.LBB0_221:                              ;   in Loop: Header=BB0_157 Depth=1
	.loc	1 215 22 is_stmt 1              ; fused_moe_aot.py:215:22
	v_lshl_add_u64 v[0:1], v[72:73], 0, s[28:29]
	.loc	1 223 20                        ; fused_moe_aot.py:223:20
	global_load_ubyte v135, v[0:1], off
.LBB0_222:                              ;   in Loop: Header=BB0_157 Depth=1
	ds_read_b64_tr_b8 v[88:89], v78 offset:4096
	ds_read_b64_tr_b8 v[92:93], v78 offset:6144
	;; [unrolled: 1-line block ×4, first 2 shown]
	.loc	1 246 18                        ; fused_moe_aot.py:246:18
	s_sub_i32 s60, s81, 64
	.loc	1 230 37                        ; fused_moe_aot.py:230:37
	s_lshr_b32 s60, s60, 7
	v_mov_b32_e32 v74, 0
	.loc	1 232 20                        ; fused_moe_aot.py:232:20
	s_and_saveexec_b64 vcc, s[8:9]
	s_cbranch_execz .LBB0_156
; %bb.223:                              ;   in Loop: Header=BB0_157 Depth=1
	.loc	1 0 20 is_stmt 0                ; fused_moe_aot.py:0:20
	v_readlane_b32 s61, v163, 31
	s_mul_i32 s84, s60, s61
	s_ashr_i32 s85, s84, 31
	v_lshl_add_u64 v[0:1], s[84:85], 2, v[54:55]
	.loc	1 232 20                        ; fused_moe_aot.py:232:20
	global_load_dword v74, v[0:1], off
	s_branch .LBB0_156
.LBB0_224:                              ; %._crit_edge.loopexit.loopexit
	.loc	1 230 37 is_stmt 1              ; fused_moe_aot.py:230:37
	s_ashr_i32 s0, s81, 31
	s_lshr_b32 s0, s0, 25
	s_add_i32 s0, s81, s0
	s_ashr_i32 s38, s0, 7
	v_readlane_b32 s81, v163, 33
	v_readlane_b32 s84, v163, 35
	;; [unrolled: 1-line block ×3, first 2 shown]
.LBB0_225:                              ; %._crit_edge
	.loc	1 219 12                        ; fused_moe_aot.py:219:12
	v_add_u32_e32 v0, 0, v127
	s_waitcnt lgkmcnt(0)
	s_barrier
	v_add_u32_e32 v1, 0, v128
	ds_read_b128 v[72:75], v0
	.loc	1 223 20                        ; fused_moe_aot.py:223:20
	ds_read_b128 v[76:79], v1
	v_mov_b32_e32 v0, 0x110
	v_cmp_eq_u32_e32 vcc, 0, v122
	v_readlane_b32 s4, v163, 30
	v_mov_b32_e32 v20, 0
	v_cndmask_b32_e64 v0, v0, 0, vcc
	v_bitop3_b32 v0, v0, v19, v130 bitop3:0x36
	v_or3_b32 v0, v0, v131, s4
	v_add_u32_e32 v1, 0, v0
	v_xad_u32 v0, v0, 32, 0
	ds_read_b64_tr_b8 v[80:81], v1 offset:4096
	ds_read_b64_tr_b8 v[84:85], v1 offset:6144
	;; [unrolled: 1-line block ×4, first 2 shown]
	.loc	1 215 22                        ; fused_moe_aot.py:215:22
	s_and_b64 s[2:3], s[14:15], s[8:9]
	v_mov_b32_e32 v21, v20
	.loc	1 232 20                        ; fused_moe_aot.py:232:20
	s_and_saveexec_b64 s[0:1], s[2:3]
	v_readlane_b32 s21, v162, 19
	v_readlane_b32 s23, v162, 22
	;; [unrolled: 1-line block ×14, first 2 shown]
	s_cbranch_execz .LBB0_227
; %bb.226:
	.loc	1 0 20 is_stmt 0                ; fused_moe_aot.py:0:20
	v_readlane_b32 s2, v163, 31
	s_mul_i32 s2, s38, s2
	s_ashr_i32 s3, s2, 31
	v_lshl_add_u64 v[0:1], s[2:3], 2, v[54:55]
	.loc	1 232 20                        ; fused_moe_aot.py:232:20
	global_load_dword v20, v[0:1], off
	s_waitcnt vmcnt(0)
	v_mov_b32_e32 v21, v20
.LBB0_227:
	.loc	1 0 20                          ; fused_moe_aot.py:0:20
	s_or_b64 exec, exec, s[0:1]
	.loc	1 234 59 is_stmt 1              ; fused_moe_aot.py:234:59
	s_mul_i32 s2, s38, s78
	.loc	1 234 34 is_stmt 0              ; fused_moe_aot.py:234:34
	v_cndmask_b32_e64 v0, 0, 1, s[14:15]
	v_cmp_ne_u32_e64 s[0:1], 1, v0
	s_andn2_b64 vcc, exec, s[14:15]
	.loc	1 234 49                        ; fused_moe_aot.py:234:49
	s_ashr_i32 s3, s2, 31
	.loc	1 234 34                        ; fused_moe_aot.py:234:34
	s_cbranch_vccnz .LBB0_245
; %bb.228:
	.loc	1 0 34                          ; fused_moe_aot.py:0:34
	v_lshl_add_u64 v[0:1], s[2:3], 2, v[52:53]
	.loc	1 234 34                        ; fused_moe_aot.py:234:34
	global_load_dword v52, v[0:1], off
	s_and_b64 vcc, exec, s[0:1]
	s_cbranch_vccz .LBB0_246
.LBB0_229:
	.loc	1 0 34                          ; fused_moe_aot.py:0:34
	v_mov_b32_e32 v53, 0
	.loc	1 234 34                        ; fused_moe_aot.py:234:34
	s_and_b64 vcc, exec, s[0:1]
	s_cbranch_vccz .LBB0_247
.LBB0_230:
	.loc	1 0 34                          ; fused_moe_aot.py:0:34
	v_mov_b32_e32 v48, 0
	.loc	1 234 34                        ; fused_moe_aot.py:234:34
	s_and_b64 vcc, exec, s[0:1]
	s_cbranch_vccz .LBB0_248
.LBB0_231:
	.loc	1 0 34                          ; fused_moe_aot.py:0:34
	v_mov_b32_e32 v49, 0
	.loc	1 234 34                        ; fused_moe_aot.py:234:34
	s_and_b64 vcc, exec, s[0:1]
	s_cbranch_vccz .LBB0_249
.LBB0_232:
	.loc	1 0 34                          ; fused_moe_aot.py:0:34
	v_mov_b32_e32 v44, 0
	.loc	1 234 34                        ; fused_moe_aot.py:234:34
	s_and_b64 vcc, exec, s[0:1]
	s_cbranch_vccz .LBB0_250
.LBB0_233:
	.loc	1 0 34                          ; fused_moe_aot.py:0:34
	v_mov_b32_e32 v45, 0
	.loc	1 234 34                        ; fused_moe_aot.py:234:34
	s_and_b64 vcc, exec, s[0:1]
	s_cbranch_vccz .LBB0_251
.LBB0_234:
	.loc	1 0 34                          ; fused_moe_aot.py:0:34
	v_mov_b32_e32 v40, 0
	.loc	1 234 34                        ; fused_moe_aot.py:234:34
	s_and_b64 vcc, exec, s[0:1]
	s_cbranch_vccz .LBB0_252
.LBB0_235:
	.loc	1 0 34                          ; fused_moe_aot.py:0:34
	v_mov_b32_e32 v41, 0
	.loc	1 234 34                        ; fused_moe_aot.py:234:34
	s_and_b64 vcc, exec, s[0:1]
	s_cbranch_vccz .LBB0_253
.LBB0_236:
	.loc	1 0 34                          ; fused_moe_aot.py:0:34
	v_mov_b32_e32 v36, 0
	.loc	1 234 34                        ; fused_moe_aot.py:234:34
	s_and_b64 vcc, exec, s[0:1]
	s_cbranch_vccz .LBB0_254
.LBB0_237:
	.loc	1 0 34                          ; fused_moe_aot.py:0:34
	v_mov_b32_e32 v37, 0
	.loc	1 234 34                        ; fused_moe_aot.py:234:34
	s_and_b64 vcc, exec, s[0:1]
	s_cbranch_vccz .LBB0_255
.LBB0_238:
	.loc	1 0 34                          ; fused_moe_aot.py:0:34
	v_mov_b32_e32 v32, 0
	.loc	1 234 34                        ; fused_moe_aot.py:234:34
	s_and_b64 vcc, exec, s[0:1]
	s_cbranch_vccz .LBB0_256
.LBB0_239:
	.loc	1 0 34                          ; fused_moe_aot.py:0:34
	v_mov_b32_e32 v33, 0
	.loc	1 234 34                        ; fused_moe_aot.py:234:34
	s_and_b64 vcc, exec, s[0:1]
	s_cbranch_vccz .LBB0_257
.LBB0_240:
	.loc	1 0 34                          ; fused_moe_aot.py:0:34
	v_mov_b32_e32 v28, 0
	.loc	1 234 34                        ; fused_moe_aot.py:234:34
	s_and_b64 vcc, exec, s[0:1]
	s_cbranch_vccz .LBB0_258
.LBB0_241:
	.loc	1 0 34                          ; fused_moe_aot.py:0:34
	v_mov_b32_e32 v29, 0
	.loc	1 234 34                        ; fused_moe_aot.py:234:34
	s_and_b64 vcc, exec, s[0:1]
	s_cbranch_vccz .LBB0_259
.LBB0_242:
	.loc	1 0 34                          ; fused_moe_aot.py:0:34
	v_mov_b32_e32 v24, 0
	.loc	1 234 34                        ; fused_moe_aot.py:234:34
	s_and_b64 vcc, exec, s[0:1]
	s_cbranch_vccz .LBB0_260
.LBB0_243:
	.loc	1 0 34                          ; fused_moe_aot.py:0:34
	v_mov_b32_e32 v25, 0
	.loc	1 236 41 is_stmt 1              ; fused_moe_aot.py:236:41
	s_and_b64 vcc, exec, s[0:1]
	s_cbranch_vccz .LBB0_261
.LBB0_244:
	.loc	1 0 41 is_stmt 0                ; fused_moe_aot.py:0:41
	v_mov_b32_e32 v0, 0
	v_mov_b32_e32 v1, v0
	;; [unrolled: 1-line block ×16, first 2 shown]
	.loc	1 236 41                        ; fused_moe_aot.py:236:41
	s_branch .LBB0_262
.LBB0_245:
	.loc	1 0 41                          ; fused_moe_aot.py:0:41
	v_mov_b32_e32 v52, 0
	.loc	1 234 34 is_stmt 1              ; fused_moe_aot.py:234:34
	s_and_b64 vcc, exec, s[0:1]
	s_cbranch_vccnz .LBB0_229
.LBB0_246:
	.loc	1 234 49 is_stmt 0              ; fused_moe_aot.py:234:49
	v_lshl_add_u64 v[0:1], s[2:3], 2, v[50:51]
	.loc	1 234 34                        ; fused_moe_aot.py:234:34
	global_load_dword v53, v[0:1], off
	s_and_b64 vcc, exec, s[0:1]
	s_cbranch_vccnz .LBB0_230
.LBB0_247:
	.loc	1 234 49                        ; fused_moe_aot.py:234:49
	v_lshl_add_u64 v[0:1], s[2:3], 2, v[48:49]
	.loc	1 234 34                        ; fused_moe_aot.py:234:34
	global_load_dword v48, v[0:1], off
	s_and_b64 vcc, exec, s[0:1]
	s_cbranch_vccnz .LBB0_231
.LBB0_248:
	.loc	1 234 49                        ; fused_moe_aot.py:234:49
	v_lshl_add_u64 v[0:1], s[2:3], 2, v[46:47]
	.loc	1 234 34                        ; fused_moe_aot.py:234:34
	global_load_dword v49, v[0:1], off
	s_and_b64 vcc, exec, s[0:1]
	s_cbranch_vccnz .LBB0_232
.LBB0_249:
	.loc	1 234 49                        ; fused_moe_aot.py:234:49
	v_lshl_add_u64 v[0:1], s[2:3], 2, v[44:45]
	.loc	1 234 34                        ; fused_moe_aot.py:234:34
	global_load_dword v44, v[0:1], off
	s_and_b64 vcc, exec, s[0:1]
	s_cbranch_vccnz .LBB0_233
.LBB0_250:
	.loc	1 234 49                        ; fused_moe_aot.py:234:49
	v_lshl_add_u64 v[0:1], s[2:3], 2, v[42:43]
	.loc	1 234 34                        ; fused_moe_aot.py:234:34
	global_load_dword v45, v[0:1], off
	s_and_b64 vcc, exec, s[0:1]
	s_cbranch_vccnz .LBB0_234
.LBB0_251:
	.loc	1 234 49                        ; fused_moe_aot.py:234:49
	v_lshl_add_u64 v[0:1], s[2:3], 2, v[40:41]
	.loc	1 234 34                        ; fused_moe_aot.py:234:34
	global_load_dword v40, v[0:1], off
	s_and_b64 vcc, exec, s[0:1]
	s_cbranch_vccnz .LBB0_235
.LBB0_252:
	.loc	1 234 49                        ; fused_moe_aot.py:234:49
	v_lshl_add_u64 v[0:1], s[2:3], 2, v[38:39]
	.loc	1 234 34                        ; fused_moe_aot.py:234:34
	global_load_dword v41, v[0:1], off
	s_and_b64 vcc, exec, s[0:1]
	s_cbranch_vccnz .LBB0_236
.LBB0_253:
	.loc	1 234 49                        ; fused_moe_aot.py:234:49
	v_lshl_add_u64 v[0:1], s[2:3], 2, v[36:37]
	.loc	1 234 34                        ; fused_moe_aot.py:234:34
	global_load_dword v36, v[0:1], off
	s_and_b64 vcc, exec, s[0:1]
	s_cbranch_vccnz .LBB0_237
.LBB0_254:
	.loc	1 234 49                        ; fused_moe_aot.py:234:49
	v_lshl_add_u64 v[0:1], s[2:3], 2, v[34:35]
	.loc	1 234 34                        ; fused_moe_aot.py:234:34
	global_load_dword v37, v[0:1], off
	s_and_b64 vcc, exec, s[0:1]
	s_cbranch_vccnz .LBB0_238
.LBB0_255:
	.loc	1 234 49                        ; fused_moe_aot.py:234:49
	v_lshl_add_u64 v[0:1], s[2:3], 2, v[32:33]
	.loc	1 234 34                        ; fused_moe_aot.py:234:34
	global_load_dword v32, v[0:1], off
	s_and_b64 vcc, exec, s[0:1]
	s_cbranch_vccnz .LBB0_239
.LBB0_256:
	.loc	1 234 49                        ; fused_moe_aot.py:234:49
	v_lshl_add_u64 v[0:1], s[2:3], 2, v[30:31]
	.loc	1 234 34                        ; fused_moe_aot.py:234:34
	global_load_dword v33, v[0:1], off
	s_and_b64 vcc, exec, s[0:1]
	s_cbranch_vccnz .LBB0_240
.LBB0_257:
	.loc	1 234 49                        ; fused_moe_aot.py:234:49
	v_lshl_add_u64 v[0:1], s[2:3], 2, v[28:29]
	.loc	1 234 34                        ; fused_moe_aot.py:234:34
	global_load_dword v28, v[0:1], off
	s_and_b64 vcc, exec, s[0:1]
	s_cbranch_vccnz .LBB0_241
.LBB0_258:
	.loc	1 234 49                        ; fused_moe_aot.py:234:49
	v_lshl_add_u64 v[0:1], s[2:3], 2, v[26:27]
	.loc	1 234 34                        ; fused_moe_aot.py:234:34
	global_load_dword v29, v[0:1], off
	s_and_b64 vcc, exec, s[0:1]
	s_cbranch_vccnz .LBB0_242
.LBB0_259:
	.loc	1 234 49                        ; fused_moe_aot.py:234:49
	v_lshl_add_u64 v[0:1], s[2:3], 2, v[24:25]
	.loc	1 234 34                        ; fused_moe_aot.py:234:34
	global_load_dword v24, v[0:1], off
	s_and_b64 vcc, exec, s[0:1]
	s_cbranch_vccnz .LBB0_243
.LBB0_260:
	.loc	1 234 49                        ; fused_moe_aot.py:234:49
	v_lshl_add_u64 v[0:1], s[2:3], 2, v[22:23]
	.loc	1 234 34                        ; fused_moe_aot.py:234:34
	global_load_dword v25, v[0:1], off
	.loc	1 236 41 is_stmt 1              ; fused_moe_aot.py:236:41
	s_and_b64 vcc, exec, s[0:1]
	s_cbranch_vccnz .LBB0_244
.LBB0_261:
	s_waitcnt lgkmcnt(0)
	v_mfma_f32_32x32x64_f8f6f4 v[0:15], v[80:87], v[72:79], 0
.LBB0_262:
	.loc	1 236 46 is_stmt 0              ; fused_moe_aot.py:236:46
	s_nop 15
	s_nop 3
	v_pk_mul_f32 v[0:1], v[20:21], v[0:1]
	v_pk_mul_f32 v[2:3], v[20:21], v[2:3]
	.loc	1 236 31                        ; fused_moe_aot.py:236:31
	s_waitcnt vmcnt(0)
	v_pk_fma_f32 v[0:1], v[52:53], v[0:1], v[70:71]
	.loc	1 236 46                        ; fused_moe_aot.py:236:46
	v_pk_mul_f32 v[4:5], v[20:21], v[4:5]
	v_pk_mul_f32 v[6:7], v[20:21], v[6:7]
	;; [unrolled: 1-line block ×6, first 2 shown]
	.loc	1 215 22 is_stmt 1              ; fused_moe_aot.py:215:22
	v_cndmask_b32_e64 v19, v71, v1, s[14:15]
	v_cndmask_b32_e64 v20, v70, v0, s[14:15]
	.loc	1 236 31                        ; fused_moe_aot.py:236:31
	v_pk_fma_f32 v[0:1], v[48:49], v[2:3], v[68:69]
	.loc	1 129 24                        ; fused_moe_aot.py:129:24
	v_lshrrev_b32_e32 v17, 2, v17
	.loc	1 215 22                        ; fused_moe_aot.py:215:22
	v_cndmask_b32_e64 v2, v69, v1, s[14:15]
	v_cndmask_b32_e64 v3, v68, v0, s[14:15]
	.loc	1 236 31                        ; fused_moe_aot.py:236:31
	v_pk_fma_f32 v[0:1], v[44:45], v[4:5], v[66:67]
	.loc	1 129 24                        ; fused_moe_aot.py:129:24
	v_or_b32_e32 v17, s4, v17
	.loc	1 215 22                        ; fused_moe_aot.py:215:22
	v_cndmask_b32_e64 v4, v67, v1, s[14:15]
	v_cndmask_b32_e64 v5, v66, v0, s[14:15]
	.loc	1 236 31                        ; fused_moe_aot.py:236:31
	v_pk_fma_f32 v[0:1], v[40:41], v[6:7], v[64:65]
	.loc	1 215 22                        ; fused_moe_aot.py:215:22
	s_nop 0
	v_cndmask_b32_e64 v6, v65, v1, s[14:15]
	v_cndmask_b32_e64 v7, v64, v0, s[14:15]
	.loc	1 236 31                        ; fused_moe_aot.py:236:31
	v_pk_fma_f32 v[0:1], v[36:37], v[8:9], v[62:63]
	.loc	1 280 33                        ; fused_moe_aot.py:280:33
	v_cvt_pk_bf16_f32 v9, v3, v2
	.loc	1 215 22                        ; fused_moe_aot.py:215:22
	v_cndmask_b32_e64 v21, v63, v1, s[14:15]
	v_cndmask_b32_e64 v22, v62, v0, s[14:15]
	.loc	1 236 31                        ; fused_moe_aot.py:236:31
	v_pk_fma_f32 v[0:1], v[32:33], v[10:11], v[60:61]
	.loc	1 284 37                        ; fused_moe_aot.py:284:37
	v_or_b32_e32 v3, s20, v17
	.loc	1 215 22                        ; fused_moe_aot.py:215:22
	v_cndmask_b32_e64 v11, v61, v1, s[14:15]
	v_cndmask_b32_e64 v23, v60, v0, s[14:15]
	.loc	1 236 31                        ; fused_moe_aot.py:236:31
	v_pk_fma_f32 v[0:1], v[28:29], v[12:13], v[58:59]
	.loc	1 280 33                        ; fused_moe_aot.py:280:33
	v_cvt_pk_bf16_f32 v10, v20, v19
	.loc	1 215 22                        ; fused_moe_aot.py:215:22
	v_cndmask_b32_e64 v12, v59, v1, s[14:15]
	v_cndmask_b32_e64 v13, v58, v0, s[14:15]
	.loc	1 236 31                        ; fused_moe_aot.py:236:31
	v_pk_fma_f32 v[0:1], v[24:25], v[14:15], v[56:57]
	.loc	1 280 33                        ; fused_moe_aot.py:280:33
	v_cvt_pk_bf16_f32 v8, v5, v4
	.loc	1 215 22                        ; fused_moe_aot.py:215:22
	v_cndmask_b32_e64 v1, v57, v1, s[14:15]
	v_cndmask_b32_e64 v0, v56, v0, s[14:15]
	.loc	1 280 33                        ; fused_moe_aot.py:280:33
	v_cvt_pk_bf16_f32 v7, v7, v6
	v_cvt_pk_bf16_f32 v6, v22, v21
	;; [unrolled: 1-line block ×5, first 2 shown]
	.loc	1 285 33                        ; fused_moe_aot.py:285:33
	v_mad_i64_i32 v[0:1], s[0:1], v18, s50, 0
	.loc	1 286 55                        ; fused_moe_aot.py:286:55
	v_cmp_gt_i32_e32 vcc, s33, v3
	.loc	1 285 21                        ; fused_moe_aot.py:285:21
	v_lshl_add_u64 v[0:1], v[0:1], 1, s[6:7]
	.loc	1 286 36                        ; fused_moe_aot.py:286:36
	s_and_b64 s[2:3], vcc, s[8:9]
	.loc	1 280 33                        ; fused_moe_aot.py:280:33
	v_permlane32_swap_b32_e32 v10, v8
	v_permlane32_swap_b32_e32 v9, v7
	;; [unrolled: 1-line block ×4, first 2 shown]
	.loc	1 287 21                        ; fused_moe_aot.py:287:21
	s_and_saveexec_b64 s[0:1], s[2:3]
	s_cbranch_execz .LBB0_264
; %bb.263:
	.loc	1 0 21 is_stmt 0                ; fused_moe_aot.py:0:21
	v_mul_lo_u32 v12, v3, s51
	v_ashrrev_i32_e32 v13, 31, v12
	v_lshl_add_u64 v[12:13], v[12:13], 1, v[0:1]
	.loc	1 287 21                        ; fused_moe_aot.py:287:21
	global_store_short v[12:13], v10, off
.LBB0_264:
	.loc	1 0 21                          ; fused_moe_aot.py:0:21
	s_or_b64 exec, exec, s[0:1]
	.loc	1 284 37 is_stmt 1              ; fused_moe_aot.py:284:37
	v_or_b32_e32 v11, 1, v3
	.loc	1 286 55                        ; fused_moe_aot.py:286:55
	v_cmp_gt_i32_e32 vcc, s33, v11
	.loc	1 286 36 is_stmt 0              ; fused_moe_aot.py:286:36
	s_and_b64 s[2:3], vcc, s[8:9]
	.loc	1 287 21 is_stmt 1              ; fused_moe_aot.py:287:21
	s_and_saveexec_b64 s[0:1], s[2:3]
	s_cbranch_execz .LBB0_266
; %bb.265:
	.loc	1 285 67                        ; fused_moe_aot.py:285:67
	v_mul_lo_u32 v12, v11, s51
	.loc	1 285 55 is_stmt 0              ; fused_moe_aot.py:285:55
	v_ashrrev_i32_e32 v13, 31, v12
	v_lshl_add_u64 v[12:13], v[12:13], 1, v[0:1]
	.loc	1 287 21 is_stmt 1              ; fused_moe_aot.py:287:21
	global_store_short_d16_hi v[12:13], v10, off
.LBB0_266:
	.loc	1 0 21 is_stmt 0                ; fused_moe_aot.py:0:21
	s_or_b64 exec, exec, s[0:1]
	.loc	1 284 37 is_stmt 1              ; fused_moe_aot.py:284:37
	v_or_b32_e32 v10, 2, v3
	.loc	1 286 55                        ; fused_moe_aot.py:286:55
	v_cmp_gt_i32_e32 vcc, s33, v10
	.loc	1 286 36 is_stmt 0              ; fused_moe_aot.py:286:36
	s_and_b64 s[2:3], vcc, s[8:9]
	.loc	1 287 21 is_stmt 1              ; fused_moe_aot.py:287:21
	s_and_saveexec_b64 s[0:1], s[2:3]
	s_cbranch_execz .LBB0_268
; %bb.267:
	.loc	1 285 67                        ; fused_moe_aot.py:285:67
	v_mul_lo_u32 v10, v10, s51
	.loc	1 285 55 is_stmt 0              ; fused_moe_aot.py:285:55
	v_ashrrev_i32_e32 v11, 31, v10
	v_lshl_add_u64 v[10:11], v[10:11], 1, v[0:1]
	.loc	1 287 21 is_stmt 1              ; fused_moe_aot.py:287:21
	global_store_short v[10:11], v9, off
.LBB0_268:
	.loc	1 0 21 is_stmt 0                ; fused_moe_aot.py:0:21
	s_or_b64 exec, exec, s[0:1]
	.loc	1 284 37 is_stmt 1              ; fused_moe_aot.py:284:37
	v_or_b32_e32 v10, 3, v3
	.loc	1 286 55                        ; fused_moe_aot.py:286:55
	v_cmp_gt_i32_e32 vcc, s33, v10
	.loc	1 286 36 is_stmt 0              ; fused_moe_aot.py:286:36
	s_and_b64 s[2:3], vcc, s[8:9]
	.loc	1 287 21 is_stmt 1              ; fused_moe_aot.py:287:21
	s_and_saveexec_b64 s[0:1], s[2:3]
	s_cbranch_execz .LBB0_270
; %bb.269:
	.loc	1 285 67                        ; fused_moe_aot.py:285:67
	v_mul_lo_u32 v10, v10, s51
	.loc	1 285 55 is_stmt 0              ; fused_moe_aot.py:285:55
	v_ashrrev_i32_e32 v11, 31, v10
	v_lshl_add_u64 v[10:11], v[10:11], 1, v[0:1]
	.loc	1 287 21 is_stmt 1              ; fused_moe_aot.py:287:21
	global_store_short_d16_hi v[10:11], v9, off
.LBB0_270:
	.loc	1 0 21 is_stmt 0                ; fused_moe_aot.py:0:21
	s_or_b64 exec, exec, s[0:1]
	.loc	1 284 37 is_stmt 1              ; fused_moe_aot.py:284:37
	v_or_b32_e32 v9, 4, v3
	.loc	1 286 55                        ; fused_moe_aot.py:286:55
	v_cmp_gt_i32_e32 vcc, s33, v9
	.loc	1 286 36 is_stmt 0              ; fused_moe_aot.py:286:36
	s_and_b64 s[2:3], vcc, s[8:9]
	.loc	1 287 21 is_stmt 1              ; fused_moe_aot.py:287:21
	s_and_saveexec_b64 s[0:1], s[2:3]
	s_cbranch_execz .LBB0_272
; %bb.271:
	.loc	1 285 67                        ; fused_moe_aot.py:285:67
	v_mul_lo_u32 v10, v9, s51
	.loc	1 285 55 is_stmt 0              ; fused_moe_aot.py:285:55
	v_ashrrev_i32_e32 v11, 31, v10
	v_lshl_add_u64 v[10:11], v[10:11], 1, v[0:1]
	.loc	1 287 21 is_stmt 1              ; fused_moe_aot.py:287:21
	global_store_short v[10:11], v8, off
.LBB0_272:
	.loc	1 0 21 is_stmt 0                ; fused_moe_aot.py:0:21
	;; [unrolled: 40-line block ×7, first 2 shown]
	s_or_b64 exec, exec, s[0:1]
	.loc	1 284 37 is_stmt 1              ; fused_moe_aot.py:284:37
	v_or_b32_e32 v3, 23, v3
	.loc	1 285 67                        ; fused_moe_aot.py:285:67
	v_mul_lo_u32 v4, v3, s51
	.loc	1 285 55 is_stmt 0              ; fused_moe_aot.py:285:55
	v_ashrrev_i32_e32 v5, 31, v4
	.loc	1 286 55 is_stmt 1              ; fused_moe_aot.py:286:55
	v_cmp_gt_i32_e32 vcc, s33, v3
	.loc	1 285 55                        ; fused_moe_aot.py:285:55
	v_lshl_add_u64 v[0:1], v[4:5], 1, v[0:1]
	.loc	1 286 36                        ; fused_moe_aot.py:286:36
	s_and_b64 s[0:1], vcc, s[8:9]
	.loc	1 287 21                        ; fused_moe_aot.py:287:21
	v_lshrrev_b32_e32 v2, 16, v2
	s_branch .LBB0_324
.LBB0_293:
.Ltmp16:
	.loc	1 21 37                         ; fused_moe_aot.py:21:37 @[ fused_moe_aot.py:163:12 ]
	v_or_b32_e32 v2, s20, v16
	.loc	1 22 67                         ; fused_moe_aot.py:22:67 @[ fused_moe_aot.py:163:12 ]
	v_mul_lo_u32 v0, v2, s51
	.loc	1 23 55                         ; fused_moe_aot.py:23:55 @[ fused_moe_aot.py:163:12 ]
	v_cmp_gt_i32_e32 vcc, s33, v2
	.loc	1 22 55                         ; fused_moe_aot.py:22:55 @[ fused_moe_aot.py:163:12 ]
	v_ashrrev_i32_e32 v1, 31, v0
	.loc	1 23 36                         ; fused_moe_aot.py:23:36 @[ fused_moe_aot.py:163:12 ]
	s_and_b64 s[2:3], vcc, s[86:87]
	.loc	1 24 21                         ; fused_moe_aot.py:24:21 @[ fused_moe_aot.py:163:12 ]
	s_and_saveexec_b64 s[0:1], s[2:3]
	s_cbranch_execz .LBB0_295
; %bb.294:
	.loc	1 22 33                         ; fused_moe_aot.py:22:33 @[ fused_moe_aot.py:163:12 ]
	s_mul_hi_i32 s3, s34, s50
	s_mul_i32 s2, s34, s50
	.loc	1 22 21 is_stmt 0               ; fused_moe_aot.py:22:21 @[ fused_moe_aot.py:163:12 ]
	s_lshl_b64 s[2:3], s[2:3], 1
	s_add_u32 s2, s6, s2
	s_addc_u32 s3, s7, s3
	.loc	1 22 55                         ; fused_moe_aot.py:22:55 @[ fused_moe_aot.py:163:12 ]
	v_lshl_add_u64 v[2:3], v[0:1], 1, s[2:3]
	v_mov_b32_e32 v4, 0
	.loc	1 24 21 is_stmt 1               ; fused_moe_aot.py:24:21 @[ fused_moe_aot.py:163:12 ]
	global_store_short v[2:3], v4, off
.LBB0_295:
	.loc	1 0 21 is_stmt 0                ; fused_moe_aot.py:0:21
	s_or_b64 exec, exec, s[0:1]
	.loc	1 23 36 is_stmt 1               ; fused_moe_aot.py:23:36 @[ fused_moe_aot.py:163:12 ]
	v_readlane_b32 s0, v163, 0
	v_readlane_b32 s1, v163, 1
	s_and_b64 s[2:3], vcc, s[0:1]
	.loc	1 24 21                         ; fused_moe_aot.py:24:21 @[ fused_moe_aot.py:163:12 ]
	s_and_saveexec_b64 s[0:1], s[2:3]
	s_cbranch_execz .LBB0_297
; %bb.296:
	.loc	1 22 33                         ; fused_moe_aot.py:22:33 @[ fused_moe_aot.py:163:12 ]
	s_mul_hi_i32 s3, s72, s50
	s_mul_i32 s2, s72, s50
	.loc	1 22 21 is_stmt 0               ; fused_moe_aot.py:22:21 @[ fused_moe_aot.py:163:12 ]
	s_lshl_b64 s[2:3], s[2:3], 1
	s_add_u32 s2, s6, s2
	s_addc_u32 s3, s7, s3
	.loc	1 22 55                         ; fused_moe_aot.py:22:55 @[ fused_moe_aot.py:163:12 ]
	v_lshl_add_u64 v[2:3], v[0:1], 1, s[2:3]
	v_mov_b32_e32 v4, 0
	.loc	1 24 21 is_stmt 1               ; fused_moe_aot.py:24:21 @[ fused_moe_aot.py:163:12 ]
	global_store_short v[2:3], v4, off
.LBB0_297:
	.loc	1 0 21 is_stmt 0                ; fused_moe_aot.py:0:21
	s_or_b64 exec, exec, s[0:1]
	.loc	1 23 36 is_stmt 1               ; fused_moe_aot.py:23:36 @[ fused_moe_aot.py:163:12 ]
	v_readlane_b32 s0, v163, 2
	v_readlane_b32 s1, v163, 3
	;; [unrolled: 23-line block ×14, first 2 shown]
	s_and_b64 s[2:3], vcc, s[0:1]
	.loc	1 24 21                         ; fused_moe_aot.py:24:21 @[ fused_moe_aot.py:163:12 ]
	s_and_saveexec_b64 s[0:1], s[2:3]
	s_cbranch_execz .LBB0_323
; %bb.322:
	.loc	1 22 33                         ; fused_moe_aot.py:22:33 @[ fused_moe_aot.py:163:12 ]
	s_mul_hi_i32 s3, s84, s50
	s_mul_i32 s2, s84, s50
	.loc	1 22 21 is_stmt 0               ; fused_moe_aot.py:22:21 @[ fused_moe_aot.py:163:12 ]
	s_lshl_b64 s[2:3], s[2:3], 1
	s_add_u32 s2, s6, s2
	s_addc_u32 s3, s7, s3
	.loc	1 22 55                         ; fused_moe_aot.py:22:55 @[ fused_moe_aot.py:163:12 ]
	v_lshl_add_u64 v[2:3], v[0:1], 1, s[2:3]
	v_mov_b32_e32 v4, 0
	.loc	1 24 21 is_stmt 1               ; fused_moe_aot.py:24:21 @[ fused_moe_aot.py:163:12 ]
	global_store_short v[2:3], v4, off
.LBB0_323:
	.loc	1 0 21 is_stmt 0                ; fused_moe_aot.py:0:21
	s_or_b64 exec, exec, s[0:1]
	.loc	1 22 33 is_stmt 1               ; fused_moe_aot.py:22:33 @[ fused_moe_aot.py:163:12 ]
	s_mul_hi_i32 s1, s81, s50
	s_mul_i32 s0, s81, s50
	.loc	1 22 21 is_stmt 0               ; fused_moe_aot.py:22:21 @[ fused_moe_aot.py:163:12 ]
	s_lshl_b64 s[0:1], s[0:1], 1
	s_add_u32 s0, s6, s0
	s_addc_u32 s1, s7, s1
	.loc	1 22 55                         ; fused_moe_aot.py:22:55 @[ fused_moe_aot.py:163:12 ]
	v_lshl_add_u64 v[0:1], v[0:1], 1, s[0:1]
	.loc	1 23 36 is_stmt 1               ; fused_moe_aot.py:23:36 @[ fused_moe_aot.py:163:12 ]
	v_readlane_b32 s0, v163, 28
	v_readlane_b32 s1, v163, 29
	s_and_b64 s[0:1], vcc, s[0:1]
	v_mov_b32_e32 v2, 0
.LBB0_324:                              ; %Flow539
	.loc	1 0 36 is_stmt 0                ; fused_moe_aot.py:0:36
	s_and_saveexec_b64 s[2:3], s[0:1]
	s_xor_b64 s[2:3], exec, s[2:3]
	s_cbranch_execz .LBB0_326
; %bb.325:
	.loc	1 24 21 is_stmt 1               ; fused_moe_aot.py:24:21 @[ fused_moe_aot.py:163:12 ]
	global_store_short v[0:1], v2, off
.Ltmp17:
.LBB0_326:
	.loc	1 132 8                         ; fused_moe_aot.py:132:8
	s_endpgm
.Ltmp18:
	.section	.rodata,"a",@progbits
	.p2align	6, 0x0
	.amdhsa_kernel fused_moe_kernel
		.amdhsa_group_segment_fixed_size 0
		.amdhsa_private_segment_fixed_size 0
		.amdhsa_kernarg_size 168
		.amdhsa_user_sgpr_count 16
		.amdhsa_user_sgpr_dispatch_ptr 0
		.amdhsa_user_sgpr_queue_ptr 0
		.amdhsa_user_sgpr_kernarg_segment_ptr 1
		.amdhsa_user_sgpr_dispatch_id 0
		.amdhsa_user_sgpr_kernarg_preload_length 14
		.amdhsa_user_sgpr_kernarg_preload_offset 0
		.amdhsa_user_sgpr_private_segment_size 0
		.amdhsa_uses_dynamic_stack 0
		.amdhsa_enable_private_segment 0
		.amdhsa_system_sgpr_workgroup_id_x 1
		.amdhsa_system_sgpr_workgroup_id_y 0
		.amdhsa_system_sgpr_workgroup_id_z 0
		.amdhsa_system_sgpr_workgroup_info 0
		.amdhsa_system_vgpr_workitem_id 0
		.amdhsa_next_free_vgpr 164
		.amdhsa_next_free_sgpr 100
		.amdhsa_accum_offset 164
		.amdhsa_reserve_vcc 1
		.amdhsa_reserve_xnack_mask 1
		.amdhsa_float_round_mode_32 0
		.amdhsa_float_round_mode_16_64 0
		.amdhsa_float_denorm_mode_32 3
		.amdhsa_float_denorm_mode_16_64 3
		.amdhsa_dx10_clamp 1
		.amdhsa_ieee_mode 1
		.amdhsa_fp16_overflow 0
		.amdhsa_tg_split 0
		.amdhsa_exception_fp_ieee_invalid_op 0
		.amdhsa_exception_fp_denorm_src 0
		.amdhsa_exception_fp_ieee_div_zero 0
		.amdhsa_exception_fp_ieee_overflow 0
		.amdhsa_exception_fp_ieee_underflow 0
		.amdhsa_exception_fp_ieee_inexact 0
		.amdhsa_exception_int_div_zero 0
	.end_amdhsa_kernel
	.text
.Lfunc_end0:
	.size	fused_moe_kernel, .Lfunc_end0-fused_moe_kernel
	.cfi_endproc
                                        ; -- End function
	.set fused_moe_kernel.num_vgpr, 164
	.set fused_moe_kernel.num_agpr, 0
	.set fused_moe_kernel.numbered_sgpr, 100
	.set fused_moe_kernel.num_named_barrier, 0
	.set fused_moe_kernel.private_seg_size, 0
	.set fused_moe_kernel.uses_vcc, 1
	.set fused_moe_kernel.uses_flat_scratch, 0
	.set fused_moe_kernel.has_dyn_sized_stack, 0
	.set fused_moe_kernel.has_recursion, 0
	.set fused_moe_kernel.has_indirect_call, 0
	.section	.AMDGPU.csdata,"",@progbits
; Kernel info:
; codeLenInByte = 14964
; TotalNumSgprs: 106
; NumVgprs: 164
; NumAgprs: 0
; TotalNumVgprs: 164
; ScratchSize: 0
; MemoryBound: 0
; FloatMode: 240
; IeeeMode: 1
; LDSByteSize: 0 bytes/workgroup (compile time only)
; SGPRBlocks: 13
; VGPRBlocks: 20
; NumSGPRsForWavesPerEU: 106
; NumVGPRsForWavesPerEU: 164
; AccumOffset: 164
; Occupancy: 3
; WaveLimiterHint : 1
; COMPUTE_PGM_RSRC2:SCRATCH_EN: 0
; COMPUTE_PGM_RSRC2:USER_SGPR: 16
; COMPUTE_PGM_RSRC2:TRAP_HANDLER: 0
; COMPUTE_PGM_RSRC2:TGID_X_EN: 1
; COMPUTE_PGM_RSRC2:TGID_Y_EN: 0
; COMPUTE_PGM_RSRC2:TGID_Z_EN: 0
; COMPUTE_PGM_RSRC2:TIDIG_COMP_CNT: 0
; COMPUTE_PGM_RSRC3_GFX90A:ACCUM_OFFSET: 40
; COMPUTE_PGM_RSRC3_GFX90A:TG_SPLIT: 0
	.text
	.p2alignl 6, 3212836864
	.fill 256, 4, 3212836864
	.section	.AMDGPU.gpr_maximums,"",@progbits
	.set amdgpu.max_num_vgpr, 0
	.set amdgpu.max_num_agpr, 0
	.set amdgpu.max_num_sgpr, 0
	.set amdgpu.max_num_named_barrier, 0
	.text
	.section	.debug_abbrev,"",@progbits
	.byte	1                               ; Abbreviation Code
	.byte	17                              ; DW_TAG_compile_unit
	.byte	1                               ; DW_CHILDREN_yes
	.byte	37                              ; DW_AT_producer
	.byte	14                              ; DW_FORM_strp
	.byte	19                              ; DW_AT_language
	.byte	5                               ; DW_FORM_data2
	.byte	3                               ; DW_AT_name
	.byte	14                              ; DW_FORM_strp
	.byte	16                              ; DW_AT_stmt_list
	.byte	23                              ; DW_FORM_sec_offset
	.byte	27                              ; DW_AT_comp_dir
	.byte	14                              ; DW_FORM_strp
	.byte	17                              ; DW_AT_low_pc
	.byte	1                               ; DW_FORM_addr
	.byte	18                              ; DW_AT_high_pc
	.byte	6                               ; DW_FORM_data4
	.byte	0                               ; EOM(1)
	.byte	0                               ; EOM(2)
	.byte	2                               ; Abbreviation Code
	.byte	46                              ; DW_TAG_subprogram
	.byte	0                               ; DW_CHILDREN_no
	.byte	3                               ; DW_AT_name
	.byte	14                              ; DW_FORM_strp
	.byte	32                              ; DW_AT_inline
	.byte	11                              ; DW_FORM_data1
	.byte	0                               ; EOM(1)
	.byte	0                               ; EOM(2)
	.byte	3                               ; Abbreviation Code
	.byte	46                              ; DW_TAG_subprogram
	.byte	1                               ; DW_CHILDREN_yes
	.byte	17                              ; DW_AT_low_pc
	.byte	1                               ; DW_FORM_addr
	.byte	18                              ; DW_AT_high_pc
	.byte	6                               ; DW_FORM_data4
	.byte	49                              ; DW_AT_abstract_origin
	.byte	19                              ; DW_FORM_ref4
	.byte	0                               ; EOM(1)
	.byte	0                               ; EOM(2)
	.byte	4                               ; Abbreviation Code
	.byte	29                              ; DW_TAG_inlined_subroutine
	.byte	0                               ; DW_CHILDREN_no
	.byte	49                              ; DW_AT_abstract_origin
	.byte	19                              ; DW_FORM_ref4
	.byte	17                              ; DW_AT_low_pc
	.byte	1                               ; DW_FORM_addr
	.byte	18                              ; DW_AT_high_pc
	.byte	6                               ; DW_FORM_data4
	.byte	88                              ; DW_AT_call_file
	.byte	11                              ; DW_FORM_data1
	.byte	89                              ; DW_AT_call_line
	.byte	11                              ; DW_FORM_data1
	.byte	87                              ; DW_AT_call_column
	.byte	11                              ; DW_FORM_data1
	.byte	0                               ; EOM(1)
	.byte	0                               ; EOM(2)
	.byte	5                               ; Abbreviation Code
	.byte	29                              ; DW_TAG_inlined_subroutine
	.byte	0                               ; DW_CHILDREN_no
	.byte	49                              ; DW_AT_abstract_origin
	.byte	19                              ; DW_FORM_ref4
	.byte	85                              ; DW_AT_ranges
	.byte	23                              ; DW_FORM_sec_offset
	.byte	88                              ; DW_AT_call_file
	.byte	11                              ; DW_FORM_data1
	.byte	89                              ; DW_AT_call_line
	.byte	11                              ; DW_FORM_data1
	.byte	87                              ; DW_AT_call_column
	.byte	11                              ; DW_FORM_data1
	.byte	0                               ; EOM(1)
	.byte	0                               ; EOM(2)
	;; [unrolled: 1-line block ×3, first 2 shown]
	.section	.debug_info,"",@progbits
.Lcu_begin0:
	.long	.Ldebug_info_end0-.Ldebug_info_start0 ; Length of Unit
.Ldebug_info_start0:
	.short	4                               ; DWARF version number
	.long	.debug_abbrev                   ; Offset Into Abbrev. Section
	.byte	8                               ; Address Size (in bytes)
	.byte	1                               ; Abbrev [1] 0xb:0x78 DW_TAG_compile_unit
	.long	.Linfo_string0                  ; DW_AT_producer
	.short	2                               ; DW_AT_language
	.long	.Linfo_string1                  ; DW_AT_name
	.long	.Lline_table_start0             ; DW_AT_stmt_list
	.long	.Linfo_string2                  ; DW_AT_comp_dir
	.quad	.Lfunc_begin0                   ; DW_AT_low_pc
	.long	.Lfunc_end0-.Lfunc_begin0       ; DW_AT_high_pc
	.byte	2                               ; Abbrev [2] 0x2a:0x6 DW_TAG_subprogram
	.long	.Linfo_string3                  ; DW_AT_name
	.byte	1                               ; DW_AT_inline
	.byte	3                               ; Abbrev [3] 0x30:0x52 DW_TAG_subprogram
	.quad	.Lfunc_begin0                   ; DW_AT_low_pc
	.long	.Lfunc_end0-.Lfunc_begin0       ; DW_AT_high_pc
	.long	42                              ; DW_AT_abstract_origin
	.byte	4                               ; Abbrev [4] 0x41:0x14 DW_TAG_inlined_subroutine
	.long	42                              ; DW_AT_abstract_origin
	.quad	.Ltmp2                          ; DW_AT_low_pc
	.long	.Ltmp3-.Ltmp2                   ; DW_AT_high_pc
	.byte	1                               ; DW_AT_call_file
	.byte	115                             ; DW_AT_call_line
	.byte	27                              ; DW_AT_call_column
	.byte	5                               ; Abbrev [5] 0x55:0xc DW_TAG_inlined_subroutine
	.long	42                              ; DW_AT_abstract_origin
	.long	.Ldebug_ranges0                 ; DW_AT_ranges
	.byte	1                               ; DW_AT_call_file
	.byte	114                             ; DW_AT_call_line
	.byte	28                              ; DW_AT_call_column
	.byte	5                               ; Abbrev [5] 0x61:0xc DW_TAG_inlined_subroutine
	.long	42                              ; DW_AT_abstract_origin
	.long	.Ldebug_ranges1                 ; DW_AT_ranges
	.byte	1                               ; DW_AT_call_file
	.byte	215                             ; DW_AT_call_line
	.byte	33                              ; DW_AT_call_column
	.byte	4                               ; Abbrev [4] 0x6d:0x14 DW_TAG_inlined_subroutine
	.long	42                              ; DW_AT_abstract_origin
	.quad	.Ltmp16                         ; DW_AT_low_pc
	.long	.Ltmp17-.Ltmp16                 ; DW_AT_high_pc
	.byte	1                               ; DW_AT_call_file
	.byte	163                             ; DW_AT_call_line
	.byte	12                              ; DW_AT_call_column
	.byte	0                               ; End Of Children Mark
	.byte	0                               ; End Of Children Mark
.Ldebug_info_end0:
	.section	.debug_ranges,"",@progbits
.Ldebug_ranges0:
	.quad	.Ltmp4-.Lfunc_begin0
	.quad	.Ltmp5-.Lfunc_begin0
	;; [unrolled: 1-line block ×6, first 2 shown]
	.quad	0
	.quad	0
.Ldebug_ranges1:
	.quad	.Ltmp10-.Lfunc_begin0
	.quad	.Ltmp11-.Lfunc_begin0
	;; [unrolled: 1-line block ×6, first 2 shown]
	.quad	0
	.quad	0
	.section	.debug_str,"MS",@progbits,1
.Linfo_string0:
	.asciz	"triton"                        ; string offset=0
.Linfo_string1:
	.asciz	"fused_moe_aot.py"              ; string offset=7
.Linfo_string2:
	.asciz	"/root/src/amdgpu-assembly/repos/vllm-project__vllm/triton_aot_kernels" ; string offset=24
.Linfo_string3:
	.asciz	"fused_moe_kernel"              ; string offset=94
	.section	".note.GNU-stack","",@progbits
	.amdgpu_metadata
---
amdhsa.kernels:
  - .agpr_count:     0
    .args:
      - .address_space:  global
        .offset:         0
        .size:           8
        .value_kind:     global_buffer
      - .address_space:  global
        .offset:         8
        .size:           8
        .value_kind:     global_buffer
      - .address_space:  global
        .offset:         16
        .size:           8
        .value_kind:     global_buffer
      - .address_space:  global
        .offset:         24
        .size:           8
        .value_kind:     global_buffer
      - .address_space:  global
        .offset:         32
        .size:           8
        .value_kind:     global_buffer
      - .address_space:  global
        .offset:         40
        .size:           8
        .value_kind:     global_buffer
      - .address_space:  global
        .offset:         48
        .size:           8
        .value_kind:     global_buffer
      - .address_space:  global
        .offset:         56
        .size:           8
        .value_kind:     global_buffer
      - .address_space:  global
        .offset:         64
        .size:           8
        .value_kind:     global_buffer
      - .address_space:  global
        .offset:         72
        .size:           8
        .value_kind:     global_buffer
      - .offset:         80
        .size:           4
        .value_kind:     by_value
      - .offset:         84
        .size:           4
        .value_kind:     by_value
      - .offset:         88
        .size:           4
        .value_kind:     by_value
      - .offset:         92
        .size:           4
        .value_kind:     by_value
      - .offset:         96
        .size:           4
        .value_kind:     by_value
      - .offset:         100
        .size:           4
        .value_kind:     by_value
      - .offset:         104
        .size:           4
        .value_kind:     by_value
      - .offset:         108
        .size:           4
        .value_kind:     by_value
      - .offset:         112
        .size:           4
        .value_kind:     by_value
      - .offset:         116
        .size:           4
        .value_kind:     by_value
      - .offset:         120
        .size:           4
        .value_kind:     by_value
      - .offset:         124
        .size:           4
        .value_kind:     by_value
      - .offset:         128
        .size:           4
        .value_kind:     by_value
      - .offset:         132
        .size:           4
        .value_kind:     by_value
      - .offset:         136
        .size:           4
        .value_kind:     by_value
      - .offset:         140
        .size:           4
        .value_kind:     by_value
      - .offset:         144
        .size:           4
        .value_kind:     by_value
      - .offset:         148
        .size:           4
        .value_kind:     by_value
      - .address_space:  global
        .offset:         152
        .size:           8
        .value_kind:     global_buffer
      - .address_space:  global
        .offset:         160
        .size:           8
        .value_kind:     global_buffer
    .group_segment_fixed_size: 0
    .kernarg_segment_align: 8
    .kernarg_segment_size: 168
    .max_flat_workgroup_size: 256
    .name:           fused_moe_kernel
    .private_segment_fixed_size: 0
    .sgpr_count:     106
    .sgpr_spill_count: 91
    .symbol:         fused_moe_kernel.kd
    .uniform_work_group_size: 1
    .uses_dynamic_stack: false
    .vgpr_count:     164
    .vgpr_spill_count: 0
    .wavefront_size: 64
amdhsa.target:   amdgcn-amd-amdhsa--gfx950
amdhsa.version:
  - 1
  - 2
...

	.end_amdgpu_metadata
	.section	.debug_line,"",@progbits
.Lline_table_start0:
